;; amdgpu-corpus repo=ROCm/rocFFT kind=compiled arch=gfx1201 opt=O3
	.text
	.amdgcn_target "amdgcn-amd-amdhsa--gfx1201"
	.amdhsa_code_object_version 6
	.protected	fft_rtc_fwd_len1638_factors_13_2_3_7_3_wgs_182_tpt_182_halfLds_dp_ip_CI_unitstride_sbrr_R2C_dirReg ; -- Begin function fft_rtc_fwd_len1638_factors_13_2_3_7_3_wgs_182_tpt_182_halfLds_dp_ip_CI_unitstride_sbrr_R2C_dirReg
	.globl	fft_rtc_fwd_len1638_factors_13_2_3_7_3_wgs_182_tpt_182_halfLds_dp_ip_CI_unitstride_sbrr_R2C_dirReg
	.p2align	8
	.type	fft_rtc_fwd_len1638_factors_13_2_3_7_3_wgs_182_tpt_182_halfLds_dp_ip_CI_unitstride_sbrr_R2C_dirReg,@function
fft_rtc_fwd_len1638_factors_13_2_3_7_3_wgs_182_tpt_182_halfLds_dp_ip_CI_unitstride_sbrr_R2C_dirReg: ; @fft_rtc_fwd_len1638_factors_13_2_3_7_3_wgs_182_tpt_182_halfLds_dp_ip_CI_unitstride_sbrr_R2C_dirReg
; %bb.0:
	s_clause 0x2
	s_load_b128 s[4:7], s[0:1], 0x0
	s_load_b64 s[8:9], s[0:1], 0x50
	s_load_b64 s[10:11], s[0:1], 0x18
	v_mul_u32_u24_e32 v1, 0x169, v0
	v_mov_b32_e32 v3, 0
	s_delay_alu instid0(VALU_DEP_2) | instskip(NEXT) | instid1(VALU_DEP_1)
	v_lshrrev_b32_e32 v1, 16, v1
	v_add_nc_u32_e32 v5, ttmp9, v1
	v_mov_b32_e32 v1, 0
	v_mov_b32_e32 v2, 0
	;; [unrolled: 1-line block ×3, first 2 shown]
	s_wait_kmcnt 0x0
	v_cmp_lt_u64_e64 s2, s[6:7], 2
	s_delay_alu instid0(VALU_DEP_1)
	s_and_b32 vcc_lo, exec_lo, s2
	s_cbranch_vccnz .LBB0_8
; %bb.1:
	s_load_b64 s[2:3], s[0:1], 0x10
	v_mov_b32_e32 v1, 0
	v_mov_b32_e32 v2, 0
	s_add_nc_u64 s[12:13], s[10:11], 8
	s_mov_b64 s[14:15], 1
	s_wait_kmcnt 0x0
	s_add_nc_u64 s[16:17], s[2:3], 8
	s_mov_b32 s3, 0
.LBB0_2:                                ; =>This Inner Loop Header: Depth=1
	s_load_b64 s[18:19], s[16:17], 0x0
                                        ; implicit-def: $vgpr7_vgpr8
	s_mov_b32 s2, exec_lo
	s_wait_kmcnt 0x0
	v_or_b32_e32 v4, s19, v6
	s_delay_alu instid0(VALU_DEP_1)
	v_cmpx_ne_u64_e32 0, v[3:4]
	s_wait_alu 0xfffe
	s_xor_b32 s20, exec_lo, s2
	s_cbranch_execz .LBB0_4
; %bb.3:                                ;   in Loop: Header=BB0_2 Depth=1
	s_cvt_f32_u32 s2, s18
	s_cvt_f32_u32 s21, s19
	s_sub_nc_u64 s[24:25], 0, s[18:19]
	s_wait_alu 0xfffe
	s_delay_alu instid0(SALU_CYCLE_1) | instskip(SKIP_1) | instid1(SALU_CYCLE_2)
	s_fmamk_f32 s2, s21, 0x4f800000, s2
	s_wait_alu 0xfffe
	v_s_rcp_f32 s2, s2
	s_delay_alu instid0(TRANS32_DEP_1) | instskip(SKIP_1) | instid1(SALU_CYCLE_2)
	s_mul_f32 s2, s2, 0x5f7ffffc
	s_wait_alu 0xfffe
	s_mul_f32 s21, s2, 0x2f800000
	s_wait_alu 0xfffe
	s_delay_alu instid0(SALU_CYCLE_2) | instskip(SKIP_1) | instid1(SALU_CYCLE_2)
	s_trunc_f32 s21, s21
	s_wait_alu 0xfffe
	s_fmamk_f32 s2, s21, 0xcf800000, s2
	s_cvt_u32_f32 s23, s21
	s_wait_alu 0xfffe
	s_delay_alu instid0(SALU_CYCLE_1) | instskip(SKIP_1) | instid1(SALU_CYCLE_2)
	s_cvt_u32_f32 s22, s2
	s_wait_alu 0xfffe
	s_mul_u64 s[26:27], s[24:25], s[22:23]
	s_wait_alu 0xfffe
	s_mul_hi_u32 s29, s22, s27
	s_mul_i32 s28, s22, s27
	s_mul_hi_u32 s2, s22, s26
	s_mul_i32 s30, s23, s26
	s_wait_alu 0xfffe
	s_add_nc_u64 s[28:29], s[2:3], s[28:29]
	s_mul_hi_u32 s21, s23, s26
	s_mul_hi_u32 s31, s23, s27
	s_add_co_u32 s2, s28, s30
	s_wait_alu 0xfffe
	s_add_co_ci_u32 s2, s29, s21
	s_mul_i32 s26, s23, s27
	s_add_co_ci_u32 s27, s31, 0
	s_wait_alu 0xfffe
	s_add_nc_u64 s[26:27], s[2:3], s[26:27]
	s_wait_alu 0xfffe
	v_add_co_u32 v4, s2, s22, s26
	s_delay_alu instid0(VALU_DEP_1) | instskip(SKIP_1) | instid1(VALU_DEP_1)
	s_cmp_lg_u32 s2, 0
	s_add_co_ci_u32 s23, s23, s27
	v_readfirstlane_b32 s22, v4
	s_wait_alu 0xfffe
	s_delay_alu instid0(VALU_DEP_1)
	s_mul_u64 s[24:25], s[24:25], s[22:23]
	s_wait_alu 0xfffe
	s_mul_hi_u32 s27, s22, s25
	s_mul_i32 s26, s22, s25
	s_mul_hi_u32 s2, s22, s24
	s_mul_i32 s28, s23, s24
	s_wait_alu 0xfffe
	s_add_nc_u64 s[26:27], s[2:3], s[26:27]
	s_mul_hi_u32 s21, s23, s24
	s_mul_hi_u32 s22, s23, s25
	s_wait_alu 0xfffe
	s_add_co_u32 s2, s26, s28
	s_add_co_ci_u32 s2, s27, s21
	s_mul_i32 s24, s23, s25
	s_add_co_ci_u32 s25, s22, 0
	s_wait_alu 0xfffe
	s_add_nc_u64 s[24:25], s[2:3], s[24:25]
	s_wait_alu 0xfffe
	v_add_co_u32 v4, s2, v4, s24
	s_delay_alu instid0(VALU_DEP_1) | instskip(SKIP_1) | instid1(VALU_DEP_1)
	s_cmp_lg_u32 s2, 0
	s_add_co_ci_u32 s2, s23, s25
	v_mul_hi_u32 v13, v5, v4
	s_wait_alu 0xfffe
	v_mad_co_u64_u32 v[7:8], null, v5, s2, 0
	v_mad_co_u64_u32 v[9:10], null, v6, v4, 0
	;; [unrolled: 1-line block ×3, first 2 shown]
	s_delay_alu instid0(VALU_DEP_3) | instskip(SKIP_1) | instid1(VALU_DEP_4)
	v_add_co_u32 v4, vcc_lo, v13, v7
	s_wait_alu 0xfffd
	v_add_co_ci_u32_e32 v7, vcc_lo, 0, v8, vcc_lo
	s_delay_alu instid0(VALU_DEP_2) | instskip(SKIP_1) | instid1(VALU_DEP_2)
	v_add_co_u32 v4, vcc_lo, v4, v9
	s_wait_alu 0xfffd
	v_add_co_ci_u32_e32 v4, vcc_lo, v7, v10, vcc_lo
	s_wait_alu 0xfffd
	v_add_co_ci_u32_e32 v7, vcc_lo, 0, v12, vcc_lo
	s_delay_alu instid0(VALU_DEP_2) | instskip(SKIP_1) | instid1(VALU_DEP_2)
	v_add_co_u32 v4, vcc_lo, v4, v11
	s_wait_alu 0xfffd
	v_add_co_ci_u32_e32 v9, vcc_lo, 0, v7, vcc_lo
	s_delay_alu instid0(VALU_DEP_2) | instskip(SKIP_1) | instid1(VALU_DEP_3)
	v_mul_lo_u32 v10, s19, v4
	v_mad_co_u64_u32 v[7:8], null, s18, v4, 0
	v_mul_lo_u32 v11, s18, v9
	s_delay_alu instid0(VALU_DEP_2) | instskip(NEXT) | instid1(VALU_DEP_2)
	v_sub_co_u32 v7, vcc_lo, v5, v7
	v_add3_u32 v8, v8, v11, v10
	s_delay_alu instid0(VALU_DEP_1) | instskip(SKIP_1) | instid1(VALU_DEP_1)
	v_sub_nc_u32_e32 v10, v6, v8
	s_wait_alu 0xfffd
	v_subrev_co_ci_u32_e64 v10, s2, s19, v10, vcc_lo
	v_add_co_u32 v11, s2, v4, 2
	s_wait_alu 0xf1ff
	v_add_co_ci_u32_e64 v12, s2, 0, v9, s2
	v_sub_co_u32 v13, s2, v7, s18
	v_sub_co_ci_u32_e32 v8, vcc_lo, v6, v8, vcc_lo
	s_wait_alu 0xf1ff
	v_subrev_co_ci_u32_e64 v10, s2, 0, v10, s2
	s_delay_alu instid0(VALU_DEP_3) | instskip(NEXT) | instid1(VALU_DEP_3)
	v_cmp_le_u32_e32 vcc_lo, s18, v13
	v_cmp_eq_u32_e64 s2, s19, v8
	s_wait_alu 0xfffd
	v_cndmask_b32_e64 v13, 0, -1, vcc_lo
	v_cmp_le_u32_e32 vcc_lo, s19, v10
	s_wait_alu 0xfffd
	v_cndmask_b32_e64 v14, 0, -1, vcc_lo
	v_cmp_le_u32_e32 vcc_lo, s18, v7
	;; [unrolled: 3-line block ×3, first 2 shown]
	s_wait_alu 0xfffd
	v_cndmask_b32_e64 v15, 0, -1, vcc_lo
	v_cmp_eq_u32_e32 vcc_lo, s19, v10
	s_wait_alu 0xf1ff
	s_delay_alu instid0(VALU_DEP_2)
	v_cndmask_b32_e64 v7, v15, v7, s2
	s_wait_alu 0xfffd
	v_cndmask_b32_e32 v10, v14, v13, vcc_lo
	v_add_co_u32 v13, vcc_lo, v4, 1
	s_wait_alu 0xfffd
	v_add_co_ci_u32_e32 v14, vcc_lo, 0, v9, vcc_lo
	s_delay_alu instid0(VALU_DEP_3) | instskip(SKIP_2) | instid1(VALU_DEP_3)
	v_cmp_ne_u32_e32 vcc_lo, 0, v10
	s_wait_alu 0xfffd
	v_cndmask_b32_e32 v10, v13, v11, vcc_lo
	v_cndmask_b32_e32 v8, v14, v12, vcc_lo
	v_cmp_ne_u32_e32 vcc_lo, 0, v7
	s_wait_alu 0xfffd
	s_delay_alu instid0(VALU_DEP_2)
	v_dual_cndmask_b32 v7, v4, v10 :: v_dual_cndmask_b32 v8, v9, v8
.LBB0_4:                                ;   in Loop: Header=BB0_2 Depth=1
	s_wait_alu 0xfffe
	s_and_not1_saveexec_b32 s2, s20
	s_cbranch_execz .LBB0_6
; %bb.5:                                ;   in Loop: Header=BB0_2 Depth=1
	v_cvt_f32_u32_e32 v4, s18
	s_sub_co_i32 s20, 0, s18
	s_delay_alu instid0(VALU_DEP_1) | instskip(NEXT) | instid1(TRANS32_DEP_1)
	v_rcp_iflag_f32_e32 v4, v4
	v_mul_f32_e32 v4, 0x4f7ffffe, v4
	s_delay_alu instid0(VALU_DEP_1) | instskip(SKIP_1) | instid1(VALU_DEP_1)
	v_cvt_u32_f32_e32 v4, v4
	s_wait_alu 0xfffe
	v_mul_lo_u32 v7, s20, v4
	s_delay_alu instid0(VALU_DEP_1) | instskip(NEXT) | instid1(VALU_DEP_1)
	v_mul_hi_u32 v7, v4, v7
	v_add_nc_u32_e32 v4, v4, v7
	s_delay_alu instid0(VALU_DEP_1) | instskip(NEXT) | instid1(VALU_DEP_1)
	v_mul_hi_u32 v4, v5, v4
	v_mul_lo_u32 v7, v4, s18
	v_add_nc_u32_e32 v8, 1, v4
	s_delay_alu instid0(VALU_DEP_2) | instskip(NEXT) | instid1(VALU_DEP_1)
	v_sub_nc_u32_e32 v7, v5, v7
	v_subrev_nc_u32_e32 v9, s18, v7
	v_cmp_le_u32_e32 vcc_lo, s18, v7
	s_wait_alu 0xfffd
	s_delay_alu instid0(VALU_DEP_2) | instskip(NEXT) | instid1(VALU_DEP_1)
	v_dual_cndmask_b32 v7, v7, v9 :: v_dual_cndmask_b32 v4, v4, v8
	v_cmp_le_u32_e32 vcc_lo, s18, v7
	s_delay_alu instid0(VALU_DEP_2) | instskip(SKIP_1) | instid1(VALU_DEP_1)
	v_add_nc_u32_e32 v8, 1, v4
	s_wait_alu 0xfffd
	v_dual_cndmask_b32 v7, v4, v8 :: v_dual_mov_b32 v8, v3
.LBB0_6:                                ;   in Loop: Header=BB0_2 Depth=1
	s_wait_alu 0xfffe
	s_or_b32 exec_lo, exec_lo, s2
	s_load_b64 s[20:21], s[12:13], 0x0
	s_delay_alu instid0(VALU_DEP_1)
	v_mul_lo_u32 v4, v8, s18
	v_mul_lo_u32 v11, v7, s19
	v_mad_co_u64_u32 v[9:10], null, v7, s18, 0
	s_add_nc_u64 s[14:15], s[14:15], 1
	s_add_nc_u64 s[12:13], s[12:13], 8
	s_wait_alu 0xfffe
	v_cmp_ge_u64_e64 s2, s[14:15], s[6:7]
	s_add_nc_u64 s[16:17], s[16:17], 8
	s_delay_alu instid0(VALU_DEP_2) | instskip(NEXT) | instid1(VALU_DEP_3)
	v_add3_u32 v4, v10, v11, v4
	v_sub_co_u32 v5, vcc_lo, v5, v9
	s_wait_alu 0xfffd
	s_delay_alu instid0(VALU_DEP_2) | instskip(SKIP_3) | instid1(VALU_DEP_2)
	v_sub_co_ci_u32_e32 v4, vcc_lo, v6, v4, vcc_lo
	s_and_b32 vcc_lo, exec_lo, s2
	s_wait_kmcnt 0x0
	v_mul_lo_u32 v6, s21, v5
	v_mul_lo_u32 v4, s20, v4
	v_mad_co_u64_u32 v[1:2], null, s20, v5, v[1:2]
	s_delay_alu instid0(VALU_DEP_1)
	v_add3_u32 v2, v6, v2, v4
	s_wait_alu 0xfffe
	s_cbranch_vccnz .LBB0_9
; %bb.7:                                ;   in Loop: Header=BB0_2 Depth=1
	v_dual_mov_b32 v5, v7 :: v_dual_mov_b32 v6, v8
	s_branch .LBB0_2
.LBB0_8:
	v_dual_mov_b32 v8, v6 :: v_dual_mov_b32 v7, v5
.LBB0_9:
	s_lshl_b64 s[2:3], s[6:7], 3
	v_mul_hi_u32 v3, 0x1681682, v0
	s_wait_alu 0xfffe
	s_add_nc_u64 s[2:3], s[10:11], s[2:3]
	s_load_b64 s[2:3], s[2:3], 0x0
	s_load_b64 s[0:1], s[0:1], 0x20
	s_delay_alu instid0(VALU_DEP_1) | instskip(NEXT) | instid1(VALU_DEP_1)
	v_mul_u32_u24_e32 v3, 0xb6, v3
	v_sub_nc_u32_e32 v72, v0, v3
	s_delay_alu instid0(VALU_DEP_1)
	v_lshl_add_u32 v244, v72, 4, 0
	s_wait_kmcnt 0x0
	v_mul_lo_u32 v4, s2, v8
	v_mul_lo_u32 v5, s3, v7
	v_mad_co_u64_u32 v[1:2], null, s2, v7, v[1:2]
	v_cmp_gt_u64_e32 vcc_lo, s[0:1], v[7:8]
	s_delay_alu instid0(VALU_DEP_2) | instskip(NEXT) | instid1(VALU_DEP_1)
	v_add3_u32 v2, v5, v2, v4
	v_lshlrev_b64_e32 v[0:1], 4, v[1:2]
	scratch_store_b64 off, v[0:1], off      ; 8-byte Folded Spill
	s_and_saveexec_b32 s1, vcc_lo
	s_cbranch_execz .LBB0_11
; %bb.10:
	scratch_load_b64 v[2:3], off, off       ; 8-byte Folded Reload
	v_mov_b32_e32 v73, 0
	s_delay_alu instid0(VALU_DEP_1) | instskip(SKIP_4) | instid1(VALU_DEP_2)
	v_lshlrev_b64_e32 v[0:1], 4, v[72:73]
	s_wait_loadcnt 0x0
	v_add_co_u32 v2, s0, s8, v2
	s_wait_alu 0xf1ff
	v_add_co_ci_u32_e64 v3, s0, s9, v3, s0
	v_add_co_u32 v32, s0, v2, v0
	s_wait_alu 0xf1ff
	s_delay_alu instid0(VALU_DEP_2)
	v_add_co_ci_u32_e64 v33, s0, v3, v1, s0
	s_clause 0x8
	global_load_b128 v[0:3], v[32:33], off
	global_load_b128 v[4:7], v[32:33], off offset:2912
	global_load_b128 v[8:11], v[32:33], off offset:5824
	global_load_b128 v[12:15], v[32:33], off offset:8736
	global_load_b128 v[16:19], v[32:33], off offset:11648
	global_load_b128 v[20:23], v[32:33], off offset:14560
	global_load_b128 v[24:27], v[32:33], off offset:17472
	global_load_b128 v[28:31], v[32:33], off offset:20384
	global_load_b128 v[32:35], v[32:33], off offset:23296
	s_wait_loadcnt 0x8
	ds_store_b128 v244, v[0:3]
	s_wait_loadcnt 0x7
	ds_store_b128 v244, v[4:7] offset:2912
	s_wait_loadcnt 0x6
	ds_store_b128 v244, v[8:11] offset:5824
	;; [unrolled: 2-line block ×8, first 2 shown]
.LBB0_11:
	s_wait_alu 0xfffe
	s_or_b32 exec_lo, exec_lo, s1
	global_wb scope:SCOPE_SE
	s_wait_storecnt_dscnt 0x0
	s_barrier_signal -1
	s_barrier_wait -1
	global_inv scope:SCOPE_SE
	ds_load_b128 v[12:15], v244 offset:24192
	ds_load_b128 v[16:19], v244 offset:2016
	ds_load_b128 v[44:47], v244
	ds_load_b128 v[24:27], v244 offset:22176
	ds_load_b128 v[48:51], v244 offset:4032
	s_mov_b32 s22, 0x4267c47c
	s_mov_b32 s23, 0xbfddbe06
	ds_load_b128 v[52:55], v244 offset:6048
	ds_load_b128 v[28:31], v244 offset:20160
	s_mov_b32 s16, 0xe00740e9
	s_mov_b32 s14, 0x42a4c3d2
	s_mov_b32 s2, 0x66966769
	s_mov_b32 s17, 0x3fec55a7
	s_mov_b32 s15, 0xbfea55e2
	s_mov_b32 s3, 0xbfefc445
	ds_load_b128 v[36:39], v244 offset:18144
	ds_load_b128 v[40:43], v244 offset:16128
	;; [unrolled: 1-line block ×4, first 2 shown]
	s_mov_b32 s12, 0x1ea71119
	s_mov_b32 s6, 0xebaa3ed8
	;; [unrolled: 1-line block ×4, first 2 shown]
	s_wait_dscnt 0x9
	v_add_f64_e64 v[126:127], v[18:19], -v[14:15]
	v_add_f64_e64 v[116:117], v[16:17], -v[12:13]
	v_add_f64_e32 v[120:121], v[16:17], v[12:13]
	s_wait_dscnt 0x6
	v_add_f64_e64 v[108:109], v[50:51], -v[26:27]
	v_add_f64_e32 v[124:125], v[18:19], v[14:15]
	v_add_f64_e64 v[88:89], v[48:49], -v[24:25]
	v_add_f64_e32 v[92:93], v[48:49], v[24:25]
	s_wait_dscnt 0x4
	v_add_f64_e64 v[110:111], v[54:55], -v[30:31]
	v_add_f64_e32 v[104:105], v[50:51], v[26:27]
	v_add_f64_e64 v[94:95], v[52:53], -v[28:29]
	s_mov_b32 s13, 0x3fe22d96
	s_mov_b32 s7, 0x3fbedb7d
	;; [unrolled: 1-line block ×4, first 2 shown]
	v_add_f64_e32 v[98:99], v[52:53], v[28:29]
	s_wait_dscnt 0x1
	v_add_f64_e64 v[90:91], v[62:63], -v[38:39]
	v_add_f64_e64 v[76:77], v[60:61], -v[36:37]
	v_add_f64_e32 v[106:107], v[54:55], v[30:31]
	s_mov_b32 s18, 0xb2365da1
	s_mov_b32 s24, 0x93053d00
	;; [unrolled: 1-line block ×8, first 2 shown]
	v_add_f64_e32 v[102:103], v[60:61], v[36:37]
	v_add_f64_e32 v[142:143], v[62:63], v[38:39]
	s_wait_dscnt 0x0
	v_add_f64_e64 v[112:113], v[58:59], -v[42:43]
	v_add_f64_e64 v[86:87], v[56:57], -v[40:41]
	s_mov_b32 s34, 0xd0032e0c
	s_mov_b32 s39, 0x3fe5384d
	s_mov_b32 s35, 0xbfe7f3cc
	s_mov_b32 s37, 0x3fddbe06
	s_mov_b32 s27, 0x3fefc445
	s_mov_b32 s38, s30
	s_wait_alu 0xfffe
	s_mov_b32 s36, s22
	s_mov_b32 s26, s2
	v_mul_f64_e32 v[114:115], s[22:23], v[126:127]
	v_mul_f64_e32 v[118:119], s[22:23], v[116:117]
	;; [unrolled: 1-line block ×24, first 2 shown]
	v_add_f64_e32 v[158:159], v[56:57], v[40:41]
	v_add_f64_e32 v[192:193], v[58:59], v[42:43]
	v_mul_f64_e32 v[174:175], s[38:39], v[90:91]
	v_mul_f64_e32 v[178:179], s[38:39], v[76:77]
	;; [unrolled: 1-line block ×8, first 2 shown]
	s_wait_alu 0xfffe
	v_mul_f64_e32 v[232:233], s[26:27], v[108:109]
	v_mul_f64_e32 v[236:237], s[26:27], v[88:89]
	;; [unrolled: 1-line block ×4, first 2 shown]
	v_fma_f64 v[0:1], v[120:121], s[16:17], v[114:115]
	v_fma_f64 v[2:3], v[124:125], s[16:17], -v[118:119]
	v_fma_f64 v[8:9], v[120:121], s[12:13], v[122:123]
	scratch_store_b64 off, v[4:5], off offset:8 ; 8-byte Folded Spill
	v_fma_f64 v[4:5], v[92:93], s[12:13], v[4:5]
	scratch_store_b64 off, v[6:7], off offset:16 ; 8-byte Folded Spill
	v_fma_f64 v[6:7], v[104:105], s[12:13], -v[6:7]
	v_fma_f64 v[10:11], v[124:125], s[12:13], -v[128:129]
	v_fma_f64 v[20:21], v[120:121], s[6:7], v[130:131]
	v_fma_f64 v[22:23], v[124:125], s[6:7], -v[134:135]
	v_fma_f64 v[32:33], v[98:99], s[6:7], v[82:83]
	;; [unrolled: 2-line block ×3, first 2 shown]
	v_fma_f64 v[162:163], v[104:105], s[24:25], -v[148:149]
	ds_load_b128 v[68:71], v244 offset:12096
	ds_load_b128 v[64:67], v244 offset:14112
	v_fma_f64 v[186:187], v[102:103], s[18:19], v[96:97]
	v_fma_f64 v[190:191], v[142:143], s[18:19], -v[100:101]
	v_mul_f64_e32 v[172:173], s[26:27], v[112:113]
	v_mul_f64_e32 v[176:177], s[26:27], v[86:87]
	;; [unrolled: 1-line block ×3, first 2 shown]
	v_fma_f64 v[194:195], v[120:121], s[18:19], v[168:169]
	v_fma_f64 v[198:199], v[124:125], s[18:19], -v[170:171]
	v_fma_f64 v[200:201], v[120:121], s[34:35], v[230:231]
	v_fma_f64 v[202:203], v[124:125], s[34:35], -v[242:243]
	v_mul_f64_e32 v[184:185], s[14:15], v[86:87]
	v_mul_f64_e32 v[234:235], s[14:15], v[110:111]
	;; [unrolled: 1-line block ×3, first 2 shown]
	v_fma_f64 v[212:213], v[102:103], s[34:35], v[174:175]
	v_fma_f64 v[204:205], v[158:159], s[34:35], v[154:155]
	v_fma_f64 v[206:207], v[192:193], s[34:35], -v[156:157]
	s_mov_b32 s43, 0x3fcea1e5
	s_mov_b32 s42, s28
	v_mul_f64_e32 v[208:209], s[2:3], v[90:91]
	v_fma_f64 v[224:225], v[104:105], s[34:35], -v[228:229]
	s_wait_dscnt 0x0
	v_add_f64_e64 v[166:167], v[70:71], -v[66:67]
	v_add_f64_e64 v[152:153], v[68:69], -v[64:65]
	v_add_f64_e32 v[164:165], v[68:69], v[64:65]
	v_add_f64_e32 v[188:189], v[70:71], v[66:67]
	v_add_f64_e32 v[0:1], v[44:45], v[0:1]
	v_add_f64_e32 v[2:3], v[46:47], v[2:3]
	v_fma_f64 v[240:241], v[92:93], s[6:7], v[232:233]
	v_fma_f64 v[245:246], v[104:105], s[6:7], -v[236:237]
	v_mul_f64_e32 v[210:211], s[2:3], v[76:77]
	v_mul_f64_e32 v[222:223], s[42:43], v[90:91]
	s_mov_b32 s41, 0x3fea55e2
	v_add_f64_e32 v[10:11], v[46:47], v[10:11]
	v_add_f64_e32 v[20:21], v[44:45], v[20:21]
	;; [unrolled: 1-line block ×3, first 2 shown]
	s_mov_b32 s40, s14
	s_mov_b32 s1, exec_lo
	global_wb scope:SCOPE_SE
	s_wait_storecnt 0x0
	s_barrier_signal -1
	s_barrier_wait -1
	global_inv scope:SCOPE_SE
	v_fma_f64 v[251:252], v[192:193], s[6:7], -v[176:177]
	v_add_f64_e32 v[214:215], v[44:45], v[194:195]
	v_add_f64_e32 v[226:227], v[46:47], v[198:199]
	;; [unrolled: 1-line block ×4, first 2 shown]
	v_fma_f64 v[253:254], v[98:99], s[12:13], v[234:235]
	v_fma_f64 v[78:79], v[106:107], s[12:13], -v[238:239]
	v_mul_f64_e32 v[194:195], s[30:31], v[166:167]
	v_mul_f64_e32 v[198:199], s[30:31], v[152:153]
	v_add_f64_e32 v[0:1], v[4:5], v[0:1]
	v_add_f64_e32 v[2:3], v[6:7], v[2:3]
	v_fma_f64 v[4:5], v[92:93], s[18:19], v[132:133]
	v_add_f64_e32 v[6:7], v[44:45], v[8:9]
	v_fma_f64 v[8:9], v[104:105], s[18:19], -v[136:137]
	v_add_f64_e32 v[20:21], v[160:161], v[20:21]
	v_add_f64_e32 v[22:23], v[162:163], v[22:23]
	v_mul_f64_e32 v[160:161], s[28:29], v[166:167]
	v_mul_f64_e32 v[162:163], s[28:29], v[152:153]
	v_add_f64_e32 v[226:227], v[224:225], v[226:227]
	v_add_f64_e32 v[73:74], v[240:241], v[200:201]
	v_add_f64_e32 v[202:203], v[245:246], v[202:203]
	v_mul_f64_e32 v[240:241], s[42:43], v[76:77]
	v_mul_f64_e32 v[200:201], s[42:43], v[112:113]
	;; [unrolled: 1-line block ×3, first 2 shown]
	v_add_f64_e32 v[0:1], v[32:33], v[0:1]
	v_add_f64_e32 v[2:3], v[34:35], v[2:3]
	v_fma_f64 v[32:33], v[98:99], s[24:25], v[138:139]
	v_add_f64_e32 v[4:5], v[4:5], v[6:7]
	v_fma_f64 v[6:7], v[106:107], s[24:25], -v[140:141]
	v_add_f64_e32 v[8:9], v[8:9], v[10:11]
	v_fma_f64 v[10:11], v[98:99], s[18:19], v[144:145]
	v_fma_f64 v[34:35], v[106:107], s[18:19], -v[150:151]
	v_fma_f64 v[247:248], v[164:165], s[24:25], v[160:161]
	v_fma_f64 v[249:250], v[188:189], s[24:25], -v[162:163]
	v_add_f64_e32 v[73:74], v[253:254], v[73:74]
	v_fma_f64 v[253:254], v[102:103], s[24:25], v[222:223]
	v_add_f64_e32 v[78:79], v[78:79], v[202:203]
	v_fma_f64 v[80:81], v[142:143], s[24:25], -v[240:241]
	v_mul_f64_e32 v[202:203], s[40:41], v[166:167]
	v_add_f64_e32 v[0:1], v[186:187], v[0:1]
	v_add_f64_e32 v[2:3], v[190:191], v[2:3]
	v_mul_f64_e32 v[186:187], s[36:37], v[166:167]
	v_add_f64_e32 v[4:5], v[32:33], v[4:5]
	v_fma_f64 v[32:33], v[142:143], s[34:35], -v[178:179]
	v_add_f64_e32 v[6:7], v[6:7], v[8:9]
	v_fma_f64 v[8:9], v[102:103], s[16:17], v[182:183]
	v_add_f64_e32 v[10:11], v[10:11], v[20:21]
	v_fma_f64 v[20:21], v[142:143], s[16:17], -v[196:197]
	v_add_f64_e32 v[22:23], v[34:35], v[22:23]
	v_fma_f64 v[34:35], v[92:93], s[34:35], v[216:217]
	v_mul_f64_e32 v[190:191], s[36:37], v[152:153]
	v_add_f64_e32 v[73:74], v[253:254], v[73:74]
	v_add_f64_e32 v[78:79], v[80:81], v[78:79]
	v_add_f64_e32 v[0:1], v[204:205], v[0:1]
	v_add_f64_e32 v[2:3], v[206:207], v[2:3]
	v_fma_f64 v[206:207], v[158:159], s[6:7], v[172:173]
	v_add_f64_e32 v[4:5], v[212:213], v[4:5]
	v_mul_f64_e32 v[204:205], s[42:43], v[86:87]
	v_add_f64_e32 v[6:7], v[32:33], v[6:7]
	v_fma_f64 v[32:33], v[158:159], s[12:13], v[180:181]
	v_add_f64_e32 v[8:9], v[8:9], v[10:11]
	v_fma_f64 v[10:11], v[192:193], s[12:13], -v[184:185]
	v_add_f64_e32 v[20:21], v[20:21], v[22:23]
	v_fma_f64 v[22:23], v[98:99], s[16:17], v[218:219]
	v_add_f64_e32 v[34:35], v[34:35], v[214:215]
	v_fma_f64 v[214:215], v[106:107], s[16:17], -v[220:221]
	v_mul_f64_e32 v[212:213], s[36:37], v[112:113]
	v_fma_f64 v[245:246], v[164:165], s[16:17], v[186:187]
	v_add_f64_e32 v[0:1], v[247:248], v[0:1]
	v_add_f64_e32 v[2:3], v[249:250], v[2:3]
	v_fma_f64 v[247:248], v[164:165], s[34:35], v[194:195]
	v_add_f64_e32 v[4:5], v[206:207], v[4:5]
	v_fma_f64 v[206:207], v[188:189], s[16:17], -v[190:191]
	v_add_f64_e32 v[6:7], v[251:252], v[6:7]
	v_fma_f64 v[249:250], v[188:189], s[34:35], -v[198:199]
	;; [unrolled: 2-line block ×3, first 2 shown]
	v_add_f64_e32 v[20:21], v[10:11], v[20:21]
	v_add_f64_e32 v[22:23], v[22:23], v[34:35]
	v_fma_f64 v[34:35], v[102:103], s[6:7], v[208:209]
	v_add_f64_e32 v[226:227], v[214:215], v[226:227]
	v_mul_f64_e32 v[214:215], s[10:11], v[166:167]
	v_add_f64_e32 v[8:9], v[245:246], v[4:5]
	v_fma_f64 v[245:246], v[158:159], s[16:17], v[212:213]
	v_add_f64_e32 v[10:11], v[206:207], v[6:7]
	v_mul_f64_e32 v[206:207], s[40:41], v[152:153]
	v_add_f64_e32 v[4:5], v[247:248], v[32:33]
	v_fma_f64 v[32:33], v[192:193], s[24:25], -v[204:205]
	v_add_f64_e32 v[6:7], v[249:250], v[20:21]
	v_fma_f64 v[20:21], v[158:159], s[24:25], v[200:201]
	v_fma_f64 v[247:248], v[192:193], s[16:17], -v[224:225]
	v_add_f64_e32 v[22:23], v[34:35], v[22:23]
	v_add_f64_e32 v[34:35], v[251:252], v[226:227]
	v_mul_f64_e32 v[226:227], s[10:11], v[152:153]
	v_add_f64_e32 v[73:74], v[245:246], v[73:74]
	v_fma_f64 v[245:246], v[164:165], s[18:19], v[214:215]
	v_fma_f64 v[80:81], v[188:189], s[12:13], -v[206:207]
	v_add_f64_e32 v[78:79], v[247:248], v[78:79]
	v_add_f64_e32 v[20:21], v[20:21], v[22:23]
	v_fma_f64 v[22:23], v[164:165], s[12:13], v[202:203]
	v_add_f64_e32 v[34:35], v[32:33], v[34:35]
	v_fma_f64 v[247:248], v[188:189], s[18:19], -v[226:227]
	s_delay_alu instid0(VALU_DEP_3) | instskip(NEXT) | instid1(VALU_DEP_3)
	v_add_f64_e32 v[32:33], v[22:23], v[20:21]
	v_add_f64_e32 v[34:35], v[80:81], v[34:35]
	;; [unrolled: 1-line block ×3, first 2 shown]
	s_delay_alu instid0(VALU_DEP_4)
	v_add_f64_e32 v[22:23], v[247:248], v[78:79]
	v_cmpx_gt_u32_e32 0x7e, v72
	s_cbranch_execz .LBB0_13
; %bb.12:
	s_clause 0x1
	scratch_load_b64 v[247:248], off, off offset:16 th:TH_LOAD_LU
	scratch_load_b64 v[249:250], off, off offset:8 th:TH_LOAD_LU
	v_add_f64_e32 v[18:19], v[46:47], v[18:19]
	v_add_f64_e32 v[16:17], v[44:45], v[16:17]
	v_mul_f64_e32 v[73:74], s[6:7], v[124:125]
	v_mul_f64_e32 v[78:79], s[6:7], v[120:121]
	;; [unrolled: 1-line block ×8, first 2 shown]
	v_add_f64_e32 v[18:19], v[18:19], v[50:51]
	v_add_f64_e32 v[16:17], v[16:17], v[48:49]
	v_mul_f64_e32 v[48:49], s[24:25], v[124:125]
	v_mul_f64_e32 v[50:51], s[28:29], v[126:127]
	;; [unrolled: 1-line block ×3, first 2 shown]
	v_add_f64_e32 v[73:74], v[134:135], v[73:74]
	v_add_f64_e64 v[78:79], v[78:79], -v[130:131]
	v_add_f64_e32 v[80:81], v[128:129], v[80:81]
	v_add_f64_e64 v[114:115], v[245:246], -v[114:115]
	v_mul_f64_e32 v[128:129], s[18:19], v[104:105]
	v_mul_f64_e32 v[134:135], s[24:25], v[92:93]
	;; [unrolled: 1-line block ×4, first 2 shown]
	v_add_f64_e32 v[18:19], v[18:19], v[54:55]
	v_add_f64_e32 v[16:17], v[16:17], v[52:53]
	v_mul_f64_e32 v[52:53], s[34:35], v[124:125]
	v_mul_f64_e32 v[54:55], s[34:35], v[120:121]
	v_add_f64_e32 v[73:74], v[46:47], v[73:74]
	v_add_f64_e32 v[78:79], v[44:45], v[78:79]
	v_add_f64_e32 v[80:81], v[46:47], v[80:81]
	v_add_f64_e32 v[128:129], v[136:137], v[128:129]
	v_add_f64_e64 v[134:135], v[134:135], -v[146:147]
	v_add_f64_e64 v[130:131], v[130:131], -v[232:233]
	v_fma_f64 v[232:233], v[98:99], s[34:35], v[110:111]
	v_fma_f64 v[110:111], v[98:99], s[34:35], -v[110:111]
	v_mul_f64_e32 v[146:147], s[34:35], v[102:103]
	v_mul_f64_e32 v[136:137], s[34:35], v[142:143]
	v_add_f64_e32 v[238:239], v[238:239], v[245:246]
	v_mul_f64_e32 v[245:246], s[24:25], v[102:103]
	v_add_f64_e32 v[18:19], v[18:19], v[62:63]
	v_add_f64_e32 v[16:17], v[16:17], v[60:61]
	v_mul_f64_e32 v[60:61], s[18:19], v[124:125]
	v_mul_f64_e32 v[62:63], s[18:19], v[120:121]
	;; [unrolled: 1-line block ×3, first 2 shown]
	v_add_f64_e32 v[52:53], v[242:243], v[52:53]
	v_add_f64_e64 v[54:55], v[54:55], -v[230:231]
	v_mul_f64_e32 v[242:243], s[18:19], v[106:107]
	v_mul_f64_e32 v[230:231], s[18:19], v[98:99]
	v_add_f64_e32 v[78:79], v[134:135], v[78:79]
	v_add_f64_e32 v[134:135], v[178:179], v[136:137]
	v_add_f64_e64 v[136:137], v[146:147], -v[174:175]
	v_add_f64_e32 v[18:19], v[18:19], v[58:59]
	v_add_f64_e32 v[16:17], v[16:17], v[56:57]
	v_fma_f64 v[56:57], v[116:117], s[42:43], v[48:49]
	v_fma_f64 v[58:59], v[120:121], s[24:25], v[50:51]
	;; [unrolled: 1-line block ×3, first 2 shown]
	v_fma_f64 v[50:51], v[120:121], s[24:25], -v[50:51]
	v_add_f64_e32 v[60:61], v[170:171], v[60:61]
	v_add_f64_e64 v[62:63], v[62:63], -v[168:169]
	v_add_f64_e64 v[116:117], v[126:127], -v[122:123]
	v_add_f64_e32 v[118:119], v[118:119], v[124:125]
	v_mul_f64_e32 v[122:123], s[12:13], v[104:105]
	v_mul_f64_e32 v[124:125], s[18:19], v[92:93]
	;; [unrolled: 1-line block ×6, first 2 shown]
	v_add_f64_e32 v[52:53], v[46:47], v[52:53]
	v_add_f64_e32 v[54:55], v[44:45], v[54:55]
	;; [unrolled: 1-line block ×3, first 2 shown]
	v_add_f64_e64 v[144:145], v[230:231], -v[144:145]
	v_mul_f64_e32 v[242:243], s[6:7], v[158:159]
	v_mul_f64_e32 v[230:231], s[6:7], v[192:193]
	v_add_f64_e32 v[18:19], v[18:19], v[70:71]
	v_add_f64_e32 v[16:17], v[16:17], v[68:69]
	v_mul_f64_e32 v[68:69], s[34:35], v[106:107]
	v_mul_f64_e32 v[70:71], s[16:17], v[104:105]
	;; [unrolled: 1-line block ×3, first 2 shown]
	v_add_f64_e32 v[56:57], v[46:47], v[56:57]
	v_add_f64_e32 v[58:59], v[44:45], v[58:59]
	;; [unrolled: 1-line block ×9, first 2 shown]
	v_mul_f64_e32 v[114:115], s[12:13], v[98:99]
	v_mul_f64_e32 v[118:119], s[16:17], v[106:107]
	v_add_f64_e32 v[126:127], v[236:237], v[126:127]
	v_mul_f64_e32 v[236:237], s[24:25], v[98:99]
	v_add_f64_e32 v[148:149], v[148:149], v[168:169]
	v_add_f64_e64 v[124:125], v[124:125], -v[132:133]
	v_add_f64_e64 v[170:171], v[170:171], -v[216:217]
	v_mul_f64_e32 v[168:169], s[18:19], v[142:143]
	v_mul_f64_e32 v[216:217], s[16:17], v[142:143]
	;; [unrolled: 1-line block ×3, first 2 shown]
	v_add_f64_e32 v[54:55], v[130:131], v[54:55]
	v_add_f64_e32 v[18:19], v[18:19], v[66:67]
	;; [unrolled: 1-line block ×3, first 2 shown]
	v_fma_f64 v[66:67], v[94:95], s[38:39], v[68:69]
	v_fma_f64 v[68:69], v[94:95], s[30:31], v[68:69]
	;; [unrolled: 1-line block ×5, first 2 shown]
	v_fma_f64 v[92:93], v[92:93], s[16:17], -v[108:109]
	v_mul_f64_e32 v[108:109], s[6:7], v[106:107]
	v_mul_f64_e32 v[106:107], s[24:25], v[106:107]
	v_add_f64_e32 v[104:105], v[228:229], v[104:105]
	v_mul_f64_e32 v[64:65], s[16:17], v[98:99]
	v_mul_f64_e32 v[98:99], s[6:7], v[98:99]
	;; [unrolled: 1-line block ×3, first 2 shown]
	v_add_f64_e64 v[114:115], v[114:115], -v[234:235]
	v_mul_f64_e32 v[234:235], s[24:25], v[142:143]
	v_add_f64_e32 v[118:119], v[220:221], v[118:119]
	v_add_f64_e64 v[138:139], v[236:237], -v[138:139]
	v_add_f64_e32 v[52:53], v[126:127], v[52:53]
	v_mul_f64_e32 v[236:237], s[12:13], v[192:193]
	v_add_f64_e32 v[62:63], v[170:171], v[62:63]
	v_mul_f64_e32 v[220:221], s[34:35], v[158:159]
	v_add_f64_e32 v[130:131], v[196:197], v[216:217]
	v_add_f64_e64 v[132:133], v[132:133], -v[182:183]
	v_add_f64_e32 v[100:101], v[100:101], v[168:169]
	v_add_f64_e32 v[18:19], v[18:19], v[42:43]
	;; [unrolled: 1-line block ×3, first 2 shown]
	v_mul_f64_e32 v[42:43], s[16:17], v[158:159]
	v_add_f64_e32 v[56:57], v[94:95], v[56:57]
	v_add_f64_e32 v[48:49], v[70:71], v[48:49]
	;; [unrolled: 1-line block ×8, first 2 shown]
	v_add_f64_e64 v[64:65], v[64:65], -v[218:219]
	v_add_f64_e32 v[50:51], v[92:93], v[50:51]
	v_add_f64_e32 v[84:85], v[84:85], v[108:109]
	v_add_f64_e64 v[82:83], v[98:99], -v[82:83]
	v_mul_f64_e32 v[140:141], s[12:13], v[158:159]
	v_mul_f64_e32 v[98:99], s[24:25], v[192:193]
	;; [unrolled: 1-line block ×3, first 2 shown]
	v_add_f64_e32 v[52:53], v[238:239], v[52:53]
	v_mul_f64_e32 v[108:109], s[24:25], v[158:159]
	v_add_f64_e64 v[124:125], v[245:246], -v[222:223]
	v_add_f64_e32 v[54:55], v[114:115], v[54:55]
	v_mul_f64_e32 v[218:219], s[34:35], v[192:193]
	v_add_f64_e64 v[96:97], v[228:229], -v[96:97]
	v_mul_f64_e32 v[94:95], s[16:17], v[164:165]
	v_mul_f64_e32 v[104:105], s[16:17], v[188:189]
	v_fma_f64 v[114:115], v[158:159], s[18:19], v[112:113]
	v_fma_f64 v[112:113], v[158:159], s[18:19], -v[112:113]
	v_mul_f64_e32 v[88:89], s[24:25], v[164:165]
	v_mul_f64_e32 v[92:93], s[24:25], v[188:189]
	v_add_f64_e32 v[18:19], v[18:19], v[38:39]
	v_add_f64_e32 v[16:17], v[16:17], v[36:37]
	v_mul_f64_e32 v[38:39], s[34:35], v[164:165]
	v_add_f64_e64 v[42:43], v[42:43], -v[212:213]
	v_add_f64_e32 v[56:57], v[66:67], v[56:57]
	v_add_f64_e32 v[48:49], v[68:69], v[48:49]
	;; [unrolled: 1-line block ×9, first 2 shown]
	s_wait_loadcnt 0x1
	v_add_f64_e32 v[122:123], v[247:248], v[122:123]
	s_wait_loadcnt 0x0
	v_add_f64_e64 v[120:121], v[120:121], -v[249:250]
	v_mul_f64_e32 v[249:250], s[6:7], v[142:143]
	v_mul_f64_e32 v[142:143], s[12:13], v[142:143]
	;; [unrolled: 1-line block ×3, first 2 shown]
	v_add_f64_e32 v[50:51], v[110:111], v[50:51]
	v_fma_f64 v[110:111], v[86:87], s[20:21], v[116:117]
	v_add_f64_e32 v[98:99], v[204:205], v[98:99]
	v_add_f64_e64 v[118:119], v[140:141], -v[180:181]
	v_add_f64_e32 v[138:139], v[176:177], v[230:231]
	v_add_f64_e64 v[140:141], v[242:243], -v[172:173]
	v_mul_f64_e32 v[64:65], s[12:13], v[164:165]
	v_mul_f64_e32 v[106:107], s[26:27], v[166:167]
	v_add_f64_e64 v[108:109], v[108:109], -v[200:201]
	v_mul_f64_e32 v[79:80], s[18:19], v[164:165]
	v_add_f64_e32 v[54:55], v[124:125], v[54:55]
	v_add_f64_e64 v[144:145], v[220:221], -v[154:155]
	v_add_f64_e64 v[94:95], v[94:95], -v[186:187]
	v_add_f64_e32 v[92:93], v[162:163], v[92:93]
	v_add_f64_e32 v[18:19], v[18:19], v[30:31]
	;; [unrolled: 1-line block ×9, first 2 shown]
	v_mul_f64_e32 v[44:45], s[16:17], v[192:193]
	v_fma_f64 v[120:121], v[76:77], s[14:15], v[142:143]
	v_fma_f64 v[122:123], v[102:103], s[12:13], v[90:91]
	v_fma_f64 v[90:91], v[102:103], s[12:13], -v[90:91]
	v_add_f64_e32 v[102:103], v[240:241], v[234:235]
	v_add_f64_e32 v[126:127], v[210:211], v[249:250]
	v_add_f64_e64 v[128:129], v[247:248], -v[208:209]
	v_fma_f64 v[75:76], v[76:77], s[40:41], v[142:143]
	v_mul_f64_e32 v[77:78], s[12:13], v[188:189]
	v_add_f64_e32 v[142:143], v[156:157], v[218:219]
	v_add_f64_e64 v[64:65], v[64:65], -v[202:203]
	v_add_f64_e64 v[79:80], v[79:80], -v[214:215]
	v_add_f64_e32 v[54:55], v[42:43], v[54:55]
	v_add_f64_e32 v[46:47], v[84:85], v[46:47]
	;; [unrolled: 1-line block ×3, first 2 shown]
	v_mul_f64_e32 v[81:82], s[18:19], v[188:189]
	v_mul_f64_e32 v[83:84], s[6:7], v[188:189]
	v_fma_f64 v[85:86], v[86:87], s[10:11], v[116:117]
	v_add_f64_e32 v[44:45], v[224:225], v[44:45]
	v_add_f64_e32 v[116:117], v[184:185], v[236:237]
	;; [unrolled: 1-line block ×6, first 2 shown]
	v_mul_f64_e32 v[40:41], s[34:35], v[188:189]
	v_add_f64_e32 v[62:63], v[128:129], v[62:63]
	v_add_f64_e32 v[48:49], v[75:76], v[48:49]
	;; [unrolled: 1-line block ×3, first 2 shown]
	v_add_f64_e64 v[90:91], v[38:39], -v[194:195]
	v_add_f64_e32 v[77:78], v[206:207], v[77:78]
	v_add_f64_e64 v[87:88], v[88:89], -v[160:161]
	v_add_f64_e32 v[46:47], v[100:101], v[46:47]
	v_add_f64_e32 v[28:29], v[96:97], v[36:37]
	;; [unrolled: 1-line block ×3, first 2 shown]
	v_fma_f64 v[30:31], v[152:153], s[2:3], v[83:84]
	v_add_f64_e32 v[96:97], v[190:191], v[104:105]
	v_fma_f64 v[36:37], v[164:165], s[6:7], v[106:107]
	v_fma_f64 v[75:76], v[152:153], s[26:27], v[83:84]
	v_add_f64_e32 v[38:39], v[110:111], v[56:57]
	v_add_f64_e32 v[56:57], v[114:115], v[58:59]
	v_add_f64_e32 v[44:45], v[44:45], v[52:53]
	v_add_f64_e32 v[52:53], v[98:99], v[60:61]
	v_add_f64_e32 v[58:59], v[116:117], v[66:67]
	v_add_f64_e32 v[60:61], v[138:139], v[68:69]
	v_add_f64_e32 v[66:67], v[140:141], v[70:71]
	v_add_f64_e32 v[40:41], v[198:199], v[40:41]
	v_add_f64_e32 v[68:69], v[118:119], v[73:74]
	v_add_f64_e32 v[62:63], v[108:109], v[62:63]
	v_fma_f64 v[83:84], v[164:165], s[6:7], -v[106:107]
	v_add_f64_e32 v[48:49], v[85:86], v[48:49]
	v_add_f64_e32 v[50:51], v[112:113], v[50:51]
	;; [unrolled: 1-line block ×11, first 2 shown]
	v_mad_u32_u24 v52, 0xc0, v72, v244
	v_add_f64_e32 v[46:47], v[96:97], v[60:61]
	v_add_f64_e32 v[44:45], v[94:95], v[66:67]
	;; [unrolled: 1-line block ×11, first 2 shown]
	ds_store_b128 v52, v[20:23] offset:128
	ds_store_b128 v52, v[32:35] offset:144
	;; [unrolled: 1-line block ×10, first 2 shown]
	ds_store_b128 v52, v[12:15]
	ds_store_b128 v52, v[48:51] offset:16
	ds_store_b128 v52, v[0:3] offset:192
.LBB0_13:
	s_wait_alu 0xfffe
	s_or_b32 exec_lo, exec_lo, s1
	global_wb scope:SCOPE_SE
	s_wait_dscnt 0x0
	s_barrier_signal -1
	s_barrier_wait -1
	global_inv scope:SCOPE_SE
	ds_load_b128 v[16:19], v244
	ds_load_b128 v[24:27], v244 offset:2912
	ds_load_b128 v[40:43], v244 offset:13104
	;; [unrolled: 1-line block ×7, first 2 shown]
	v_cmp_gt_u32_e64 s0, 0x5b, v72
	s_delay_alu instid0(VALU_DEP_1)
	s_and_saveexec_b32 s1, s0
	s_cbranch_execz .LBB0_15
; %bb.14:
	ds_load_b128 v[20:23], v244 offset:11648
	ds_load_b128 v[32:35], v244 offset:24752
.LBB0_15:
	s_wait_alu 0xfffe
	s_or_b32 exec_lo, exec_lo, s1
	v_add_nc_u32_e32 v57, 0xb6, v72
	v_add_nc_u32_e32 v56, 0x16c, v72
	;; [unrolled: 1-line block ×3, first 2 shown]
	v_and_b32_e32 v52, 0xff, v72
	s_delay_alu instid0(VALU_DEP_4) | instskip(NEXT) | instid1(VALU_DEP_4)
	v_and_b32_e32 v53, 0xffff, v57
	v_and_b32_e32 v58, 0xffff, v56
	s_delay_alu instid0(VALU_DEP_4) | instskip(NEXT) | instid1(VALU_DEP_4)
	v_and_b32_e32 v59, 0xffff, v55
	v_mul_lo_u16 v54, 0x4f, v52
	s_delay_alu instid0(VALU_DEP_4) | instskip(NEXT) | instid1(VALU_DEP_4)
	v_mul_u32_u24_e32 v53, 0x4ec5, v53
	v_mul_u32_u24_e32 v52, 0x4ec5, v58
	s_delay_alu instid0(VALU_DEP_4) | instskip(NEXT) | instid1(VALU_DEP_4)
	v_mul_u32_u24_e32 v58, 0x4ec5, v59
	v_lshrrev_b16 v71, 10, v54
	s_delay_alu instid0(VALU_DEP_4) | instskip(NEXT) | instid1(VALU_DEP_4)
	v_lshrrev_b32_e32 v75, 18, v53
	v_lshrrev_b32_e32 v90, 18, v52
	s_delay_alu instid0(VALU_DEP_4) | instskip(NEXT) | instid1(VALU_DEP_4)
	v_lshrrev_b32_e32 v91, 18, v58
	v_mul_lo_u16 v59, v71, 13
	s_delay_alu instid0(VALU_DEP_4) | instskip(NEXT) | instid1(VALU_DEP_4)
	v_mul_lo_u16 v58, v75, 13
	v_mul_lo_u16 v60, v90, 13
	s_delay_alu instid0(VALU_DEP_4) | instskip(NEXT) | instid1(VALU_DEP_4)
	v_mul_lo_u16 v61, v91, 13
	v_sub_nc_u16 v59, v72, v59
	s_delay_alu instid0(VALU_DEP_4) | instskip(NEXT) | instid1(VALU_DEP_4)
	v_sub_nc_u16 v58, v57, v58
	v_sub_nc_u16 v60, v56, v60
	s_delay_alu instid0(VALU_DEP_4) | instskip(NEXT) | instid1(VALU_DEP_4)
	v_sub_nc_u16 v55, v55, v61
	v_and_b32_e32 v59, 0xff, v59
	s_delay_alu instid0(VALU_DEP_4) | instskip(NEXT) | instid1(VALU_DEP_4)
	v_and_b32_e32 v58, 0xffff, v58
	v_and_b32_e32 v60, 0xffff, v60
	s_delay_alu instid0(VALU_DEP_4) | instskip(NEXT) | instid1(VALU_DEP_4)
	v_and_b32_e32 v55, 0xffff, v55
	v_lshlrev_b32_e32 v92, 4, v59
	s_delay_alu instid0(VALU_DEP_4) | instskip(NEXT) | instid1(VALU_DEP_4)
	v_lshlrev_b32_e32 v93, 4, v58
	v_lshlrev_b32_e32 v94, 4, v60
	s_delay_alu instid0(VALU_DEP_4)
	v_lshlrev_b32_e32 v95, 4, v55
	v_add_nc_u32_e32 v58, 0x2d8, v72
	s_clause 0x3
	global_load_b128 v[59:62], v92, s[4:5]
	global_load_b128 v[63:66], v93, s[4:5]
	;; [unrolled: 1-line block ×4, first 2 shown]
	v_and_b32_e32 v55, 0xffff, v58
	s_delay_alu instid0(VALU_DEP_1) | instskip(NEXT) | instid1(VALU_DEP_1)
	v_mul_u32_u24_e32 v55, 0x4ec5, v55
	v_lshrrev_b32_e32 v55, 18, v55
	s_delay_alu instid0(VALU_DEP_1) | instskip(NEXT) | instid1(VALU_DEP_1)
	v_mul_lo_u16 v73, v55, 13
	v_sub_nc_u16 v58, v58, v73
	s_delay_alu instid0(VALU_DEP_1) | instskip(NEXT) | instid1(VALU_DEP_1)
	v_and_b32_e32 v58, 0xffff, v58
	v_lshlrev_b32_e32 v58, 4, v58
	global_load_b128 v[80:83], v58, s[4:5]
	global_wb scope:SCOPE_SE
	s_wait_loadcnt_dscnt 0x0
	s_barrier_signal -1
	s_barrier_wait -1
	global_inv scope:SCOPE_SE
	v_mul_f64_e32 v[73:74], v[42:43], v[61:62]
	v_mul_f64_e32 v[61:62], v[40:41], v[61:62]
	;; [unrolled: 1-line block ×8, first 2 shown]
	v_fma_f64 v[40:41], v[40:41], v[59:60], -v[73:74]
	v_fma_f64 v[42:43], v[42:43], v[59:60], v[61:62]
	v_fma_f64 v[59:60], v[36:37], v[63:64], -v[84:85]
	v_fma_f64 v[61:62], v[38:39], v[63:64], v[65:66]
	;; [unrolled: 2-line block ×4, first 2 shown]
	v_mul_f64_e32 v[67:68], v[34:35], v[82:83]
	v_mul_f64_e32 v[69:70], v[32:33], v[82:83]
	v_add_f64_e64 v[36:37], v[16:17], -v[40:41]
	v_add_f64_e64 v[38:39], v[18:19], -v[42:43]
	;; [unrolled: 1-line block ×8, first 2 shown]
	v_fma_f64 v[59:60], v[32:33], v[80:81], -v[67:68]
	v_fma_f64 v[61:62], v[34:35], v[80:81], v[69:70]
	v_fma_f64 v[16:17], v[16:17], 2.0, -v[36:37]
	v_fma_f64 v[18:19], v[18:19], 2.0, -v[38:39]
	;; [unrolled: 1-line block ×8, first 2 shown]
	v_add_f64_e64 v[12:13], v[20:21], -v[59:60]
	v_add_f64_e64 v[14:15], v[22:23], -v[61:62]
	v_and_b32_e32 v59, 0xffff, v71
	v_mul_u32_u24_e32 v60, 0x1a0, v75
	v_mul_u32_u24_e32 v61, 0x1a0, v90
	;; [unrolled: 1-line block ×3, first 2 shown]
	s_delay_alu instid0(VALU_DEP_4) | instskip(NEXT) | instid1(VALU_DEP_4)
	v_mul_u32_u24_e32 v59, 0x1a0, v59
	v_add3_u32 v60, 0, v60, v93
	s_delay_alu instid0(VALU_DEP_4) | instskip(NEXT) | instid1(VALU_DEP_4)
	v_add3_u32 v61, 0, v61, v94
	v_add3_u32 v62, 0, v62, v95
	s_delay_alu instid0(VALU_DEP_4)
	v_add3_u32 v59, 0, v59, v92
	ds_store_b128 v59, v[16:19]
	ds_store_b128 v59, v[36:39] offset:208
	ds_store_b128 v60, v[24:27]
	ds_store_b128 v60, v[40:43] offset:208
	;; [unrolled: 2-line block ×4, first 2 shown]
	s_and_saveexec_b32 s1, s0
	s_cbranch_execz .LBB0_17
; %bb.16:
	v_fma_f64 v[18:19], v[22:23], 2.0, -v[14:15]
	v_fma_f64 v[16:17], v[20:21], 2.0, -v[12:13]
	v_mul_lo_u16 v20, v55, 26
	s_delay_alu instid0(VALU_DEP_1) | instskip(NEXT) | instid1(VALU_DEP_1)
	v_and_b32_e32 v20, 0xffff, v20
	v_lshlrev_b32_e32 v20, 4, v20
	s_delay_alu instid0(VALU_DEP_1)
	v_add3_u32 v20, 0, v58, v20
	ds_store_b128 v20, v[16:19]
	ds_store_b128 v20, v[12:15] offset:208
.LBB0_17:
	s_wait_alu 0xfffe
	s_or_b32 exec_lo, exec_lo, s1
	v_lshrrev_b16 v85, 11, v54
	v_lshrrev_b32_e32 v86, 19, v53
	v_lshrrev_b32_e32 v87, 19, v52
	global_wb scope:SCOPE_SE
	s_wait_dscnt 0x0
	s_barrier_signal -1
	v_mul_lo_u16 v16, v85, 26
	v_mul_lo_u16 v17, v86, 26
	;; [unrolled: 1-line block ×3, first 2 shown]
	s_barrier_wait -1
	global_inv scope:SCOPE_SE
	v_sub_nc_u16 v16, v72, v16
	v_sub_nc_u16 v17, v57, v17
	s_mov_b32 s2, 0xe8584caa
	s_mov_b32 s3, 0x3febb67a
	s_mov_b32 s7, 0xbfebb67a
	v_and_b32_e32 v88, 0xff, v16
	v_sub_nc_u16 v16, v56, v18
	v_and_b32_e32 v89, 0xffff, v17
	s_wait_alu 0xfffe
	s_mov_b32 s6, s2
	v_cmp_gt_u32_e64 s1, 52, v72
	v_lshlrev_b32_e32 v20, 5, v88
	v_and_b32_e32 v90, 0xffff, v16
	v_lshlrev_b32_e32 v28, 5, v89
	s_clause 0x1
	global_load_b128 v[16:19], v20, s[4:5] offset:208
	global_load_b128 v[20:23], v20, s[4:5] offset:224
	v_lshlrev_b32_e32 v36, 5, v90
	s_clause 0x3
	global_load_b128 v[24:27], v28, s[4:5] offset:208
	global_load_b128 v[28:31], v28, s[4:5] offset:224
	;; [unrolled: 1-line block ×4, first 2 shown]
	ds_load_b128 v[40:43], v244 offset:8736
	ds_load_b128 v[44:47], v244 offset:17472
	;; [unrolled: 1-line block ×7, first 2 shown]
	s_wait_loadcnt_dscnt 0x506
	v_mul_f64_e32 v[70:71], v[42:43], v[18:19]
	s_wait_loadcnt_dscnt 0x405
	v_mul_f64_e32 v[73:74], v[46:47], v[22:23]
	v_mul_f64_e32 v[18:19], v[40:41], v[18:19]
	v_mul_f64_e32 v[22:23], v[44:45], v[22:23]
	s_wait_loadcnt_dscnt 0x304
	v_mul_f64_e32 v[75:76], v[50:51], v[26:27]
	s_wait_loadcnt_dscnt 0x203
	v_mul_f64_e32 v[77:78], v[54:55], v[30:31]
	v_mul_f64_e32 v[26:27], v[48:49], v[26:27]
	v_mul_f64_e32 v[30:31], v[52:53], v[30:31]
	;; [unrolled: 6-line block ×3, first 2 shown]
	v_fma_f64 v[40:41], v[40:41], v[16:17], -v[70:71]
	v_fma_f64 v[44:45], v[44:45], v[20:21], -v[73:74]
	v_fma_f64 v[42:43], v[42:43], v[16:17], v[18:19]
	v_fma_f64 v[46:47], v[46:47], v[20:21], v[22:23]
	v_fma_f64 v[48:49], v[48:49], v[24:25], -v[75:76]
	v_fma_f64 v[52:53], v[52:53], v[28:29], -v[77:78]
	v_fma_f64 v[24:25], v[50:51], v[24:25], v[26:27]
	v_fma_f64 v[30:31], v[54:55], v[28:29], v[30:31]
	;; [unrolled: 4-line block ×3, first 2 shown]
	ds_load_b128 v[16:19], v244
	ds_load_b128 v[20:23], v244 offset:2912
	global_wb scope:SCOPE_SE
	s_wait_dscnt 0x0
	s_barrier_signal -1
	s_barrier_wait -1
	global_inv scope:SCOPE_SE
	v_add_f64_e32 v[62:63], v[16:17], v[40:41]
	v_add_f64_e32 v[32:33], v[40:41], v[44:45]
	v_add_f64_e64 v[79:80], v[40:41], -v[44:45]
	v_add_f64_e32 v[36:37], v[42:43], v[46:47]
	v_add_f64_e64 v[64:65], v[42:43], -v[46:47]
	v_add_f64_e32 v[38:39], v[48:49], v[52:53]
	v_add_f64_e32 v[42:43], v[18:19], v[42:43]
	;; [unrolled: 1-line block ×7, first 2 shown]
	v_add_f64_e64 v[81:82], v[24:25], -v[30:31]
	v_add_f64_e64 v[83:84], v[48:49], -v[52:53]
	v_add_f64_e32 v[75:76], v[66:67], v[26:27]
	v_add_f64_e32 v[77:78], v[68:69], v[28:29]
	;; [unrolled: 1-line block ×3, first 2 shown]
	v_fma_f64 v[16:17], v[32:33], -0.5, v[16:17]
	v_fma_f64 v[18:19], v[36:37], -0.5, v[18:19]
	;; [unrolled: 1-line block ×4, first 2 shown]
	v_add_f64_e64 v[54:55], v[28:29], -v[34:35]
	v_fma_f64 v[58:59], v[58:59], -0.5, v[66:67]
	v_add_f64_e64 v[66:67], v[26:27], -v[50:51]
	v_fma_f64 v[60:61], v[60:61], -0.5, v[68:69]
	v_add_f64_e32 v[26:27], v[42:43], v[46:47]
	v_add_f64_e32 v[28:29], v[70:71], v[52:53]
	;; [unrolled: 1-line block ×5, first 2 shown]
	v_and_b32_e32 v52, 0xffff, v85
	v_mul_u32_u24_e32 v53, 0x4e0, v86
	s_delay_alu instid0(VALU_DEP_2)
	v_mul_u32_u24_e32 v52, 0x4e0, v52
	v_fma_f64 v[36:37], v[64:65], s[2:3], v[16:17]
	s_wait_alu 0xfffe
	v_fma_f64 v[40:41], v[64:65], s[6:7], v[16:17]
	v_fma_f64 v[38:39], v[79:80], s[6:7], v[18:19]
	;; [unrolled: 1-line block ×11, first 2 shown]
	v_lshlrev_b32_e32 v55, 4, v88
	v_lshlrev_b32_e32 v58, 4, v89
	v_mul_u32_u24_e32 v54, 0x4e0, v87
	v_lshlrev_b32_e32 v59, 4, v90
	s_delay_alu instid0(VALU_DEP_4) | instskip(NEXT) | instid1(VALU_DEP_4)
	v_add3_u32 v52, 0, v52, v55
	v_add3_u32 v53, 0, v53, v58
	s_delay_alu instid0(VALU_DEP_3)
	v_add3_u32 v54, 0, v54, v59
	ds_store_b128 v52, v[24:27]
	ds_store_b128 v52, v[36:39] offset:416
	ds_store_b128 v52, v[40:43] offset:832
	ds_store_b128 v53, v[28:31]
	ds_store_b128 v53, v[44:47] offset:416
	ds_store_b128 v53, v[48:51] offset:832
	ds_store_b128 v54, v[32:35]
	ds_store_b128 v54, v[16:19] offset:416
	ds_store_b128 v54, v[20:23] offset:832
	global_wb scope:SCOPE_SE
	s_wait_dscnt 0x0
	s_barrier_signal -1
	s_barrier_wait -1
	global_inv scope:SCOPE_SE
	ds_load_b128 v[28:31], v244
	ds_load_b128 v[48:51], v244 offset:3744
	ds_load_b128 v[44:47], v244 offset:7488
	;; [unrolled: 1-line block ×6, first 2 shown]
                                        ; implicit-def: $vgpr26_vgpr27
	s_and_saveexec_b32 s2, s1
	s_cbranch_execz .LBB0_19
; %bb.18:
	ds_load_b128 v[16:19], v244 offset:2912
	ds_load_b128 v[20:23], v244 offset:6656
	;; [unrolled: 1-line block ×7, first 2 shown]
.LBB0_19:
	s_wait_alu 0xfffe
	s_or_b32 exec_lo, exec_lo, s2
	v_lshrrev_b16 v58, 1, v72
	s_mov_b32 s6, 0x37e14327
	s_mov_b32 s10, 0xe976ee23
	;; [unrolled: 1-line block ×4, first 2 shown]
	v_and_b32_e32 v58, 0x7f, v58
	s_mov_b32 s2, 0x429ad128
	s_mov_b32 s3, 0x3febfeb5
	;; [unrolled: 1-line block ×4, first 2 shown]
	v_mul_lo_u16 v58, 0xd3, v58
	s_mov_b32 s12, 0xaaaaaaaa
	s_mov_b32 s20, 0xb247c609
	;; [unrolled: 1-line block ×4, first 2 shown]
	v_lshrrev_b16 v96, 13, v58
	s_mov_b32 s21, 0x3fd5d0dc
	s_mov_b32 s15, 0x3fe77f67
	;; [unrolled: 1-line block ×4, first 2 shown]
	v_mul_lo_u16 v58, 0x4e, v96
	s_wait_alu 0xfffe
	s_mov_b32 s18, s14
	s_mov_b32 s22, s20
	;; [unrolled: 1-line block ×4, first 2 shown]
	v_sub_nc_u16 v58, v72, v58
	s_delay_alu instid0(VALU_DEP_1) | instskip(NEXT) | instid1(VALU_DEP_1)
	v_and_b32_e32 v97, 0xff, v58
	v_mul_u32_u24_e32 v58, 6, v97
	s_delay_alu instid0(VALU_DEP_1)
	v_lshlrev_b32_e32 v70, 4, v58
	s_clause 0x5
	global_load_b128 v[58:61], v70, s[4:5] offset:1040
	global_load_b128 v[62:65], v70, s[4:5] offset:1056
	;; [unrolled: 1-line block ×6, first 2 shown]
	global_wb scope:SCOPE_SE
	s_wait_loadcnt_dscnt 0x0
	s_barrier_signal -1
	s_barrier_wait -1
	global_inv scope:SCOPE_SE
	v_mul_f64_e32 v[70:71], v[50:51], v[60:61]
	v_mul_f64_e32 v[60:61], v[48:49], v[60:61]
	;; [unrolled: 1-line block ×12, first 2 shown]
	v_fma_f64 v[48:49], v[48:49], v[58:59], -v[70:71]
	v_fma_f64 v[50:51], v[50:51], v[58:59], v[60:61]
	v_fma_f64 v[44:45], v[44:45], v[62:63], -v[73:74]
	v_fma_f64 v[46:47], v[46:47], v[62:63], v[64:65]
	;; [unrolled: 2-line block ×6, first 2 shown]
	v_add_f64_e32 v[58:59], v[48:49], v[52:53]
	v_add_f64_e32 v[60:61], v[50:51], v[54:55]
	;; [unrolled: 1-line block ×4, first 2 shown]
	v_add_f64_e64 v[40:41], v[44:45], -v[40:41]
	v_add_f64_e64 v[42:43], v[46:47], -v[42:43]
	v_add_f64_e32 v[44:45], v[36:37], v[32:33]
	v_add_f64_e32 v[46:47], v[38:39], v[34:35]
	v_add_f64_e64 v[32:33], v[32:33], -v[36:37]
	v_add_f64_e64 v[34:35], v[34:35], -v[38:39]
	;; [unrolled: 1-line block ×4, first 2 shown]
	v_add_f64_e32 v[48:49], v[62:63], v[58:59]
	v_add_f64_e32 v[50:51], v[64:65], v[60:61]
	v_add_f64_e64 v[52:53], v[58:59], -v[44:45]
	v_add_f64_e64 v[54:55], v[60:61], -v[46:47]
	;; [unrolled: 1-line block ×6, first 2 shown]
	v_add_f64_e32 v[40:41], v[32:33], v[40:41]
	v_add_f64_e32 v[42:43], v[34:35], v[42:43]
	v_add_f64_e64 v[32:33], v[36:37], -v[32:33]
	v_add_f64_e64 v[34:35], v[38:39], -v[34:35]
	;; [unrolled: 1-line block ×4, first 2 shown]
	v_add_f64_e32 v[48:49], v[44:45], v[48:49]
	v_add_f64_e32 v[50:51], v[46:47], v[50:51]
	v_add_f64_e64 v[44:45], v[44:45], -v[62:63]
	v_add_f64_e64 v[46:47], v[46:47], -v[64:65]
	v_mul_f64_e32 v[52:53], s[6:7], v[52:53]
	v_mul_f64_e32 v[54:55], s[6:7], v[54:55]
	;; [unrolled: 1-line block ×6, first 2 shown]
	v_add_f64_e32 v[36:37], v[40:41], v[36:37]
	v_add_f64_e32 v[38:39], v[42:43], v[38:39]
	;; [unrolled: 1-line block ×4, first 2 shown]
	v_mul_f64_e32 v[62:63], s[16:17], v[44:45]
	v_mul_f64_e32 v[64:65], s[16:17], v[46:47]
	v_fma_f64 v[40:41], v[44:45], s[16:17], v[52:53]
	v_fma_f64 v[42:43], v[46:47], s[16:17], v[54:55]
	;; [unrolled: 1-line block ×4, first 2 shown]
	v_fma_f64 v[66:67], v[70:71], s[2:3], -v[66:67]
	v_fma_f64 v[68:69], v[73:74], s[2:3], -v[68:69]
	s_wait_alu 0xfffe
	v_fma_f64 v[32:33], v[32:33], s[22:23], -v[75:76]
	v_fma_f64 v[34:35], v[34:35], s[22:23], -v[77:78]
	;; [unrolled: 1-line block ×4, first 2 shown]
	v_fma_f64 v[48:49], v[48:49], s[12:13], v[28:29]
	v_fma_f64 v[50:51], v[50:51], s[12:13], v[30:31]
	v_fma_f64 v[58:59], v[58:59], s[14:15], -v[62:63]
	v_fma_f64 v[60:61], v[60:61], s[14:15], -v[64:65]
	v_fma_f64 v[62:63], v[36:37], s[24:25], v[44:45]
	v_fma_f64 v[64:65], v[38:39], s[24:25], v[46:47]
	;; [unrolled: 1-line block ×6, first 2 shown]
	v_add_f64_e32 v[70:71], v[40:41], v[48:49]
	v_add_f64_e32 v[73:74], v[42:43], v[50:51]
	;; [unrolled: 1-line block ×6, first 2 shown]
	v_and_b32_e32 v58, 0xffff, v96
	v_lshlrev_b32_e32 v59, 4, v97
	s_delay_alu instid0(VALU_DEP_2) | instskip(NEXT) | instid1(VALU_DEP_1)
	v_mul_u32_u24_e32 v58, 0x2220, v58
	v_add3_u32 v58, 0, v58, v59
	v_add_f64_e32 v[32:33], v[64:65], v[70:71]
	v_add_f64_e64 v[34:35], v[73:74], -v[62:63]
	v_add_f64_e32 v[36:37], v[68:69], v[52:53]
	v_add_f64_e64 v[38:39], v[54:55], -v[66:67]
	v_add_f64_e64 v[40:41], v[48:49], -v[44:45]
	v_add_f64_e32 v[42:43], v[46:47], v[50:51]
	v_add_f64_e32 v[44:45], v[44:45], v[48:49]
	v_add_f64_e64 v[46:47], v[50:51], -v[46:47]
	v_add_f64_e64 v[48:49], v[52:53], -v[68:69]
	v_add_f64_e32 v[50:51], v[66:67], v[54:55]
	v_add_f64_e64 v[52:53], v[70:71], -v[64:65]
	v_add_f64_e32 v[54:55], v[62:63], v[73:74]
	ds_store_b128 v58, v[28:31]
	ds_store_b128 v58, v[32:35] offset:1248
	ds_store_b128 v58, v[36:39] offset:2496
	;; [unrolled: 1-line block ×6, first 2 shown]
	s_and_saveexec_b32 s26, s1
	s_cbranch_execz .LBB0_21
; %bb.20:
	v_lshrrev_b16 v28, 1, v57
	s_delay_alu instid0(VALU_DEP_1) | instskip(NEXT) | instid1(VALU_DEP_1)
	v_and_b32_e32 v28, 0xffff, v28
	v_mul_u32_u24_e32 v28, 0x6907, v28
	s_delay_alu instid0(VALU_DEP_1) | instskip(NEXT) | instid1(VALU_DEP_1)
	v_lshrrev_b32_e32 v28, 20, v28
	v_mul_lo_u16 v28, 0x4e, v28
	s_delay_alu instid0(VALU_DEP_1) | instskip(NEXT) | instid1(VALU_DEP_1)
	v_sub_nc_u16 v28, v57, v28
	v_and_b32_e32 v66, 0xffff, v28
	s_delay_alu instid0(VALU_DEP_1) | instskip(NEXT) | instid1(VALU_DEP_1)
	v_mul_u32_u24_e32 v28, 6, v66
	v_lshlrev_b32_e32 v48, 4, v28
	s_clause 0x5
	global_load_b128 v[28:31], v48, s[4:5] offset:1056
	global_load_b128 v[32:35], v48, s[4:5] offset:1104
	;; [unrolled: 1-line block ×6, first 2 shown]
	s_wait_loadcnt 0x5
	v_mul_f64_e32 v[52:53], v[12:13], v[30:31]
	s_wait_loadcnt 0x4
	v_mul_f64_e32 v[54:55], v[0:1], v[34:35]
	;; [unrolled: 2-line block ×4, first 2 shown]
	v_mul_f64_e32 v[30:31], v[14:15], v[30:31]
	v_mul_f64_e32 v[34:35], v[2:3], v[34:35]
	;; [unrolled: 1-line block ×4, first 2 shown]
	s_wait_loadcnt 0x1
	v_mul_f64_e32 v[62:63], v[10:11], v[46:47]
	s_wait_loadcnt 0x0
	v_mul_f64_e32 v[64:65], v[6:7], v[50:51]
	v_mul_f64_e32 v[50:51], v[4:5], v[50:51]
	;; [unrolled: 1-line block ×3, first 2 shown]
	v_fma_f64 v[14:15], v[14:15], v[28:29], v[52:53]
	v_fma_f64 v[2:3], v[2:3], v[32:33], v[54:55]
	;; [unrolled: 1-line block ×4, first 2 shown]
	v_fma_f64 v[12:13], v[12:13], v[28:29], -v[30:31]
	v_fma_f64 v[0:1], v[0:1], v[32:33], -v[34:35]
	;; [unrolled: 1-line block ×6, first 2 shown]
	v_fma_f64 v[6:7], v[6:7], v[48:49], v[50:51]
	v_fma_f64 v[10:11], v[10:11], v[44:45], v[46:47]
	v_add_f64_e32 v[28:29], v[14:15], v[2:3]
	v_add_f64_e64 v[2:3], v[14:15], -v[2:3]
	v_add_f64_e32 v[30:31], v[22:23], v[26:27]
	v_add_f64_e32 v[32:33], v[12:13], v[0:1]
	v_add_f64_e64 v[0:1], v[12:13], -v[0:1]
	v_add_f64_e32 v[34:35], v[20:21], v[24:25]
	v_add_f64_e64 v[36:37], v[8:9], -v[4:5]
	v_add_f64_e32 v[4:5], v[4:5], v[8:9]
	v_add_f64_e32 v[12:13], v[6:7], v[10:11]
	v_add_f64_e64 v[8:9], v[20:21], -v[24:25]
	v_add_f64_e64 v[6:7], v[10:11], -v[6:7]
	;; [unrolled: 1-line block ×3, first 2 shown]
	v_add_f64_e32 v[20:21], v[28:29], v[30:31]
	v_add_f64_e32 v[14:15], v[32:33], v[34:35]
	v_add_f64_e64 v[22:23], v[36:37], -v[0:1]
	v_add_f64_e64 v[26:27], v[34:35], -v[4:5]
	;; [unrolled: 1-line block ×6, first 2 shown]
	v_add_f64_e32 v[44:45], v[36:37], v[0:1]
	v_add_f64_e64 v[36:37], v[8:9], -v[36:37]
	v_add_f64_e32 v[46:47], v[6:7], v[2:3]
	v_add_f64_e64 v[6:7], v[10:11], -v[6:7]
	;; [unrolled: 2-line block ×4, first 2 shown]
	v_mul_f64_e32 v[22:23], s[10:11], v[22:23]
	v_mul_f64_e32 v[26:27], s[6:7], v[26:27]
	;; [unrolled: 1-line block ×4, first 2 shown]
	v_add_f64_e32 v[8:9], v[44:45], v[8:9]
	v_add_f64_e32 v[10:11], v[46:47], v[10:11]
	;; [unrolled: 1-line block ×3, first 2 shown]
	v_add_f64_e64 v[18:19], v[28:29], -v[30:31]
	v_mul_f64_e32 v[28:29], s[16:17], v[12:13]
	v_mul_f64_e32 v[30:31], s[10:11], v[40:41]
	v_add_f64_e32 v[0:1], v[16:17], v[14:15]
	v_mul_f64_e32 v[40:41], s[2:3], v[42:43]
	v_add_f64_e64 v[16:17], v[32:33], -v[34:35]
	v_mul_f64_e32 v[32:33], s[16:17], v[4:5]
	v_fma_f64 v[34:35], v[36:37], s[20:21], v[22:23]
	v_fma_f64 v[12:13], v[12:13], s[16:17], v[24:25]
	;; [unrolled: 1-line block ×3, first 2 shown]
	v_fma_f64 v[36:37], v[36:37], s[22:23], -v[48:49]
	v_fma_f64 v[22:23], v[38:39], s[2:3], -v[22:23]
	v_fma_f64 v[20:21], v[20:21], s[12:13], v[2:3]
	v_fma_f64 v[24:25], v[18:19], s[18:19], -v[24:25]
	v_fma_f64 v[18:19], v[18:19], s[14:15], -v[28:29]
	v_fma_f64 v[28:29], v[6:7], s[20:21], v[30:31]
	v_fma_f64 v[14:15], v[14:15], s[12:13], v[0:1]
	v_fma_f64 v[6:7], v[6:7], s[22:23], -v[40:41]
	v_fma_f64 v[26:27], v[16:17], s[18:19], -v[26:27]
	;; [unrolled: 1-line block ×4, first 2 shown]
	v_fma_f64 v[32:33], v[8:9], s[24:25], v[34:35]
	v_fma_f64 v[34:35], v[8:9], s[24:25], v[36:37]
	;; [unrolled: 1-line block ×3, first 2 shown]
	v_add_f64_e32 v[12:13], v[12:13], v[20:21]
	v_add_f64_e32 v[22:23], v[24:25], v[20:21]
	;; [unrolled: 1-line block ×3, first 2 shown]
	v_fma_f64 v[28:29], v[10:11], s[24:25], v[28:29]
	v_add_f64_e32 v[4:5], v[4:5], v[14:15]
	v_fma_f64 v[36:37], v[10:11], s[24:25], v[6:7]
	v_add_f64_e32 v[38:39], v[26:27], v[14:15]
	;; [unrolled: 2-line block ×3, first 2 shown]
	v_add_f64_e64 v[26:27], v[12:13], -v[32:33]
	v_add_f64_e32 v[10:11], v[34:35], v[22:23]
	v_add_f64_e64 v[22:23], v[22:23], -v[34:35]
	v_add_f64_e64 v[14:15], v[18:19], -v[8:9]
	v_add_f64_e32 v[24:25], v[28:29], v[4:5]
	v_add_f64_e32 v[18:19], v[8:9], v[18:19]
	;; [unrolled: 1-line block ×4, first 2 shown]
	v_add_f64_e64 v[16:17], v[40:41], -v[30:31]
	v_add_f64_e32 v[12:13], v[30:31], v[40:41]
	v_add_f64_e64 v[8:9], v[38:39], -v[36:37]
	v_add_f64_e64 v[4:5], v[4:5], -v[28:29]
	v_lshl_add_u32 v28, v66, 4, 0
	ds_store_b128 v28, v[0:3] offset:17472
	ds_store_b128 v28, v[24:27] offset:18720
	;; [unrolled: 1-line block ×7, first 2 shown]
.LBB0_21:
	s_wait_alu 0xfffe
	s_or_b32 exec_lo, exec_lo, s26
	v_dual_mov_b32 v1, 0 :: v_dual_lshlrev_b32 v0, 1, v72
	global_wb scope:SCOPE_SE
	s_wait_dscnt 0x0
	s_barrier_signal -1
	s_barrier_wait -1
	global_inv scope:SCOPE_SE
	v_lshlrev_b64_e32 v[2:3], 4, v[0:1]
	v_lshlrev_b32_e32 v0, 1, v57
	s_mov_b32 s2, 0xe8584caa
	s_mov_b32 s3, 0x3febb67a
	;; [unrolled: 1-line block ×3, first 2 shown]
	s_wait_alu 0xfffe
	s_mov_b32 s6, s2
	v_lshlrev_b64_e32 v[10:11], 4, v[0:1]
	v_lshlrev_b32_e32 v0, 1, v56
	v_add_co_u32 v6, s1, s4, v2
	s_wait_alu 0xf1ff
	v_add_co_ci_u32_e64 v7, s1, s5, v3, s1
	s_delay_alu instid0(VALU_DEP_3)
	v_lshlrev_b64_e32 v[12:13], 4, v[0:1]
	v_add_co_u32 v14, s1, s4, v10
	s_wait_alu 0xf1ff
	v_add_co_ci_u32_e64 v15, s1, s5, v11, s1
	s_clause 0x1
	global_load_b128 v[2:5], v[6:7], off offset:8544
	global_load_b128 v[6:9], v[6:7], off offset:8528
	v_add_co_u32 v22, s1, s4, v12
	s_wait_alu 0xf1ff
	v_add_co_ci_u32_e64 v23, s1, s5, v13, s1
	s_clause 0x3
	global_load_b128 v[10:13], v[14:15], off offset:8528
	global_load_b128 v[14:17], v[14:15], off offset:8544
	;; [unrolled: 1-line block ×4, first 2 shown]
	ds_load_b128 v[26:29], v244 offset:8736
	ds_load_b128 v[30:33], v244 offset:17472
	;; [unrolled: 1-line block ×7, first 2 shown]
	v_lshlrev_b32_e32 v0, 4, v72
	s_wait_loadcnt_dscnt 0x505
	v_mul_f64_e32 v[56:57], v[32:33], v[4:5]
	s_wait_loadcnt 0x4
	v_mul_f64_e32 v[54:55], v[28:29], v[8:9]
	v_mul_f64_e32 v[8:9], v[26:27], v[8:9]
	;; [unrolled: 1-line block ×3, first 2 shown]
	s_wait_loadcnt_dscnt 0x304
	v_mul_f64_e32 v[58:59], v[36:37], v[12:13]
	s_wait_loadcnt_dscnt 0x203
	v_mul_f64_e32 v[60:61], v[40:41], v[16:17]
	v_mul_f64_e32 v[12:13], v[34:35], v[12:13]
	;; [unrolled: 1-line block ×3, first 2 shown]
	s_wait_loadcnt_dscnt 0x102
	v_mul_f64_e32 v[62:63], v[44:45], v[20:21]
	s_wait_loadcnt_dscnt 0x1
	v_mul_f64_e32 v[64:65], v[48:49], v[24:25]
	v_mul_f64_e32 v[20:21], v[42:43], v[20:21]
	;; [unrolled: 1-line block ×3, first 2 shown]
	v_fma_f64 v[30:31], v[30:31], v[2:3], -v[56:57]
	v_fma_f64 v[26:27], v[26:27], v[6:7], -v[54:55]
	v_fma_f64 v[28:29], v[28:29], v[6:7], v[8:9]
	v_fma_f64 v[32:33], v[32:33], v[2:3], v[4:5]
	v_fma_f64 v[34:35], v[34:35], v[10:11], -v[58:59]
	v_fma_f64 v[38:39], v[38:39], v[14:15], -v[60:61]
	v_fma_f64 v[10:11], v[36:37], v[10:11], v[12:13]
	v_fma_f64 v[12:13], v[40:41], v[14:15], v[16:17]
	;; [unrolled: 4-line block ×3, first 2 shown]
	ds_load_b128 v[2:5], v244
	ds_load_b128 v[6:9], v244 offset:2912
	global_wb scope:SCOPE_SE
	s_wait_dscnt 0x0
	s_barrier_signal -1
	s_barrier_wait -1
	global_inv scope:SCOPE_SE
	v_add_f64_e32 v[22:23], v[26:27], v[30:31]
	v_add_f64_e32 v[46:47], v[2:3], v[26:27]
	;; [unrolled: 1-line block ×3, first 2 shown]
	v_add_f64_e64 v[48:49], v[28:29], -v[32:33]
	v_add_f64_e32 v[36:37], v[34:35], v[38:39]
	v_add_f64_e32 v[28:29], v[4:5], v[28:29]
	;; [unrolled: 1-line block ×8, first 2 shown]
	v_add_f64_e64 v[26:27], v[26:27], -v[30:31]
	v_add_f64_e32 v[60:61], v[52:53], v[18:19]
	v_add_f64_e64 v[62:63], v[10:11], -v[12:13]
	v_add_f64_e64 v[34:35], v[34:35], -v[38:39]
	;; [unrolled: 1-line block ×3, first 2 shown]
	v_fma_f64 v[22:23], v[22:23], -0.5, v[2:3]
	v_add_f64_e32 v[2:3], v[46:47], v[30:31]
	v_fma_f64 v[24:25], v[24:25], -0.5, v[4:5]
	v_fma_f64 v[36:37], v[36:37], -0.5, v[6:7]
	v_add_f64_e32 v[4:5], v[28:29], v[32:33]
	v_fma_f64 v[40:41], v[40:41], -0.5, v[8:9]
	v_add_f64_e32 v[6:7], v[54:55], v[38:39]
	v_fma_f64 v[42:43], v[42:43], -0.5, v[50:51]
	v_add_f64_e64 v[50:51], v[14:15], -v[16:17]
	v_fma_f64 v[44:45], v[44:45], -0.5, v[52:53]
	v_add_f64_e32 v[8:9], v[56:57], v[12:13]
	v_add_f64_e32 v[10:11], v[58:59], v[16:17]
	;; [unrolled: 1-line block ×3, first 2 shown]
	v_fma_f64 v[14:15], v[48:49], s[2:3], v[22:23]
	s_wait_alu 0xfffe
	v_fma_f64 v[18:19], v[48:49], s[6:7], v[22:23]
	v_fma_f64 v[16:17], v[26:27], s[6:7], v[24:25]
	;; [unrolled: 1-line block ×11, first 2 shown]
	s_mov_b32 s2, exec_lo
	ds_store_b128 v244, v[2:5]
	ds_store_b128 v244, v[6:9] offset:2912
	ds_store_b128 v244, v[14:17] offset:8736
	;; [unrolled: 1-line block ×8, first 2 shown]
	global_wb scope:SCOPE_SE
	s_wait_dscnt 0x0
	s_barrier_signal -1
	s_barrier_wait -1
	global_inv scope:SCOPE_SE
	ds_load_b128 v[4:7], v244
	v_sub_nc_u32_e32 v12, 0, v0
                                        ; implicit-def: $vgpr2_vgpr3
                                        ; implicit-def: $vgpr8_vgpr9
                                        ; implicit-def: $vgpr10_vgpr11
	v_cmpx_ne_u32_e32 0, v72
	s_wait_alu 0xfffe
	s_xor_b32 s2, exec_lo, s2
	s_cbranch_execz .LBB0_23
; %bb.22:
	v_mov_b32_e32 v73, v1
	s_delay_alu instid0(VALU_DEP_1) | instskip(NEXT) | instid1(VALU_DEP_1)
	v_lshlrev_b64_e32 v[0:1], 4, v[72:73]
	v_add_co_u32 v0, s1, s4, v0
	s_wait_alu 0xf1ff
	s_delay_alu instid0(VALU_DEP_2)
	v_add_co_ci_u32_e64 v1, s1, s5, v1, s1
	global_load_b128 v[13:16], v[0:1], off offset:26000
	ds_load_b128 v[0:3], v12 offset:26208
	s_wait_dscnt 0x0
	v_add_f64_e64 v[8:9], v[4:5], -v[0:1]
	v_add_f64_e32 v[10:11], v[6:7], v[2:3]
	v_add_f64_e64 v[2:3], v[6:7], -v[2:3]
	v_add_f64_e32 v[0:1], v[4:5], v[0:1]
	s_delay_alu instid0(VALU_DEP_4) | instskip(NEXT) | instid1(VALU_DEP_4)
	v_mul_f64_e32 v[6:7], 0.5, v[8:9]
	v_mul_f64_e32 v[4:5], 0.5, v[10:11]
	s_delay_alu instid0(VALU_DEP_4) | instskip(SKIP_1) | instid1(VALU_DEP_3)
	v_mul_f64_e32 v[2:3], 0.5, v[2:3]
	s_wait_loadcnt 0x0
	v_mul_f64_e32 v[8:9], v[6:7], v[15:16]
	s_delay_alu instid0(VALU_DEP_2) | instskip(SKIP_1) | instid1(VALU_DEP_3)
	v_fma_f64 v[10:11], v[4:5], v[15:16], v[2:3]
	v_fma_f64 v[2:3], v[4:5], v[15:16], -v[2:3]
	v_fma_f64 v[17:18], v[0:1], 0.5, v[8:9]
	v_fma_f64 v[0:1], v[0:1], 0.5, -v[8:9]
	s_delay_alu instid0(VALU_DEP_4) | instskip(NEXT) | instid1(VALU_DEP_4)
	v_fma_f64 v[8:9], -v[13:14], v[6:7], v[10:11]
	v_fma_f64 v[2:3], -v[13:14], v[6:7], v[2:3]
	v_dual_mov_b32 v10, v72 :: v_dual_mov_b32 v11, v73
	v_fma_f64 v[15:16], v[4:5], v[13:14], v[17:18]
	v_fma_f64 v[0:1], -v[4:5], v[13:14], v[0:1]
                                        ; implicit-def: $vgpr4_vgpr5
	ds_store_b64 v244, v[15:16]
.LBB0_23:
	s_wait_alu 0xfffe
	s_and_not1_saveexec_b32 s1, s2
	s_cbranch_execz .LBB0_25
; %bb.24:
	s_wait_dscnt 0x0
	v_add_f64_e32 v[13:14], v[4:5], v[6:7]
	v_add_f64_e64 v[0:1], v[4:5], -v[6:7]
	v_mov_b32_e32 v6, 0
	v_mov_b32_e32 v8, 0
	v_dual_mov_b32 v9, 0 :: v_dual_mov_b32 v10, 0
	s_delay_alu instid0(VALU_DEP_2)
	v_mov_b32_e32 v2, v8
	ds_load_b64 v[4:5], v6 offset:13112
	v_mov_b32_e32 v11, 0
	v_mov_b32_e32 v3, v9
	s_wait_dscnt 0x0
	v_xor_b32_e32 v5, 0x80000000, v5
	ds_store_b64 v244, v[13:14]
	ds_store_b64 v6, v[4:5] offset:13112
.LBB0_25:
	s_wait_alu 0xfffe
	s_or_b32 exec_lo, exec_lo, s1
	s_wait_dscnt 0x0
	v_lshlrev_b64_e32 v[4:5], 4, v[10:11]
	s_add_nc_u64 s[2:3], s[4:5], 0x6590
	s_wait_alu 0xfffe
	s_delay_alu instid0(VALU_DEP_1) | instskip(SKIP_1) | instid1(VALU_DEP_2)
	v_add_co_u32 v6, s1, s2, v4
	s_wait_alu 0xf1ff
	v_add_co_ci_u32_e64 v7, s1, s3, v5, s1
	s_clause 0x1
	global_load_b128 v[13:16], v[6:7], off offset:2912
	global_load_b128 v[17:20], v[6:7], off offset:5824
	ds_store_b64 v244, v[8:9] offset:8
	ds_store_b128 v12, v[0:3] offset:26208
	ds_load_b128 v[0:3], v244 offset:2912
	ds_load_b128 v[8:11], v12 offset:23296
	s_wait_dscnt 0x0
	v_add_f64_e64 v[21:22], v[0:1], -v[8:9]
	v_add_f64_e32 v[23:24], v[2:3], v[10:11]
	v_add_f64_e64 v[2:3], v[2:3], -v[10:11]
	v_add_f64_e32 v[0:1], v[0:1], v[8:9]
	s_delay_alu instid0(VALU_DEP_4) | instskip(NEXT) | instid1(VALU_DEP_4)
	v_mul_f64_e32 v[10:11], 0.5, v[21:22]
	v_mul_f64_e32 v[21:22], 0.5, v[23:24]
	s_delay_alu instid0(VALU_DEP_4) | instskip(SKIP_1) | instid1(VALU_DEP_3)
	v_mul_f64_e32 v[2:3], 0.5, v[2:3]
	s_wait_loadcnt 0x1
	v_mul_f64_e32 v[8:9], v[10:11], v[15:16]
	s_delay_alu instid0(VALU_DEP_2) | instskip(SKIP_1) | instid1(VALU_DEP_3)
	v_fma_f64 v[23:24], v[21:22], v[15:16], v[2:3]
	v_fma_f64 v[15:16], v[21:22], v[15:16], -v[2:3]
	v_fma_f64 v[25:26], v[0:1], 0.5, v[8:9]
	v_fma_f64 v[8:9], v[0:1], 0.5, -v[8:9]
	s_delay_alu instid0(VALU_DEP_4) | instskip(NEXT) | instid1(VALU_DEP_4)
	v_fma_f64 v[2:3], -v[13:14], v[10:11], v[23:24]
	v_fma_f64 v[10:11], -v[13:14], v[10:11], v[15:16]
	s_delay_alu instid0(VALU_DEP_4) | instskip(NEXT) | instid1(VALU_DEP_4)
	v_fma_f64 v[0:1], v[21:22], v[13:14], v[25:26]
	v_fma_f64 v[8:9], -v[21:22], v[13:14], v[8:9]
	global_load_b128 v[13:16], v[6:7], off offset:8736
	ds_store_b128 v244, v[0:3] offset:2912
	ds_store_b128 v12, v[8:11] offset:23296
	ds_load_b128 v[0:3], v244 offset:5824
	ds_load_b128 v[8:11], v12 offset:20384
	s_wait_dscnt 0x0
	v_add_f64_e64 v[21:22], v[0:1], -v[8:9]
	v_add_f64_e32 v[23:24], v[2:3], v[10:11]
	v_add_f64_e64 v[2:3], v[2:3], -v[10:11]
	v_add_f64_e32 v[0:1], v[0:1], v[8:9]
	s_delay_alu instid0(VALU_DEP_4) | instskip(NEXT) | instid1(VALU_DEP_4)
	v_mul_f64_e32 v[10:11], 0.5, v[21:22]
	v_mul_f64_e32 v[21:22], 0.5, v[23:24]
	s_delay_alu instid0(VALU_DEP_4) | instskip(SKIP_1) | instid1(VALU_DEP_3)
	v_mul_f64_e32 v[2:3], 0.5, v[2:3]
	s_wait_loadcnt 0x1
	v_mul_f64_e32 v[8:9], v[10:11], v[19:20]
	s_delay_alu instid0(VALU_DEP_2) | instskip(SKIP_1) | instid1(VALU_DEP_3)
	v_fma_f64 v[23:24], v[21:22], v[19:20], v[2:3]
	v_fma_f64 v[19:20], v[21:22], v[19:20], -v[2:3]
	v_fma_f64 v[25:26], v[0:1], 0.5, v[8:9]
	v_fma_f64 v[8:9], v[0:1], 0.5, -v[8:9]
	s_delay_alu instid0(VALU_DEP_4) | instskip(NEXT) | instid1(VALU_DEP_4)
	v_fma_f64 v[2:3], -v[17:18], v[10:11], v[23:24]
	v_fma_f64 v[10:11], -v[17:18], v[10:11], v[19:20]
	s_delay_alu instid0(VALU_DEP_4) | instskip(NEXT) | instid1(VALU_DEP_4)
	v_fma_f64 v[0:1], v[21:22], v[17:18], v[25:26]
	v_fma_f64 v[8:9], -v[21:22], v[17:18], v[8:9]
	ds_store_b128 v244, v[0:3] offset:5824
	ds_store_b128 v12, v[8:11] offset:20384
	ds_load_b128 v[0:3], v244 offset:8736
	ds_load_b128 v[8:11], v12 offset:17472
	s_wait_dscnt 0x0
	v_add_f64_e64 v[17:18], v[0:1], -v[8:9]
	v_add_f64_e32 v[19:20], v[2:3], v[10:11]
	v_add_f64_e64 v[2:3], v[2:3], -v[10:11]
	v_add_f64_e32 v[0:1], v[0:1], v[8:9]
	s_delay_alu instid0(VALU_DEP_4) | instskip(NEXT) | instid1(VALU_DEP_4)
	v_mul_f64_e32 v[10:11], 0.5, v[17:18]
	v_mul_f64_e32 v[17:18], 0.5, v[19:20]
	s_delay_alu instid0(VALU_DEP_4) | instskip(SKIP_1) | instid1(VALU_DEP_3)
	v_mul_f64_e32 v[2:3], 0.5, v[2:3]
	s_wait_loadcnt 0x0
	v_mul_f64_e32 v[8:9], v[10:11], v[15:16]
	s_delay_alu instid0(VALU_DEP_2) | instskip(SKIP_1) | instid1(VALU_DEP_3)
	v_fma_f64 v[19:20], v[17:18], v[15:16], v[2:3]
	v_fma_f64 v[15:16], v[17:18], v[15:16], -v[2:3]
	v_fma_f64 v[21:22], v[0:1], 0.5, v[8:9]
	v_fma_f64 v[8:9], v[0:1], 0.5, -v[8:9]
	s_delay_alu instid0(VALU_DEP_4) | instskip(NEXT) | instid1(VALU_DEP_4)
	v_fma_f64 v[2:3], -v[13:14], v[10:11], v[19:20]
	v_fma_f64 v[10:11], -v[13:14], v[10:11], v[15:16]
	s_delay_alu instid0(VALU_DEP_4) | instskip(NEXT) | instid1(VALU_DEP_4)
	v_fma_f64 v[0:1], v[17:18], v[13:14], v[21:22]
	v_fma_f64 v[8:9], -v[17:18], v[13:14], v[8:9]
	ds_store_b128 v244, v[0:3] offset:8736
	ds_store_b128 v12, v[8:11] offset:17472
	s_and_saveexec_b32 s1, s0
	s_cbranch_execz .LBB0_27
; %bb.26:
	global_load_b128 v[0:3], v[6:7], off offset:11648
	ds_load_b128 v[6:9], v244 offset:11648
	ds_load_b128 v[13:16], v12 offset:14560
	s_wait_dscnt 0x0
	v_add_f64_e64 v[10:11], v[6:7], -v[13:14]
	v_add_f64_e32 v[17:18], v[8:9], v[15:16]
	v_add_f64_e64 v[8:9], v[8:9], -v[15:16]
	v_add_f64_e32 v[6:7], v[6:7], v[13:14]
	s_delay_alu instid0(VALU_DEP_4) | instskip(NEXT) | instid1(VALU_DEP_4)
	v_mul_f64_e32 v[10:11], 0.5, v[10:11]
	v_mul_f64_e32 v[15:16], 0.5, v[17:18]
	s_delay_alu instid0(VALU_DEP_4) | instskip(SKIP_1) | instid1(VALU_DEP_3)
	v_mul_f64_e32 v[8:9], 0.5, v[8:9]
	s_wait_loadcnt 0x0
	v_mul_f64_e32 v[13:14], v[10:11], v[2:3]
	s_delay_alu instid0(VALU_DEP_2) | instskip(SKIP_1) | instid1(VALU_DEP_3)
	v_fma_f64 v[17:18], v[15:16], v[2:3], v[8:9]
	v_fma_f64 v[2:3], v[15:16], v[2:3], -v[8:9]
	v_fma_f64 v[19:20], v[6:7], 0.5, v[13:14]
	v_fma_f64 v[13:14], v[6:7], 0.5, -v[13:14]
	s_delay_alu instid0(VALU_DEP_4) | instskip(NEXT) | instid1(VALU_DEP_4)
	v_fma_f64 v[8:9], -v[0:1], v[10:11], v[17:18]
	v_fma_f64 v[2:3], -v[0:1], v[10:11], v[2:3]
	s_delay_alu instid0(VALU_DEP_4) | instskip(NEXT) | instid1(VALU_DEP_4)
	v_fma_f64 v[6:7], v[15:16], v[0:1], v[19:20]
	v_fma_f64 v[0:1], -v[15:16], v[0:1], v[13:14]
	ds_store_b128 v244, v[6:9] offset:11648
	ds_store_b128 v12, v[0:3] offset:14560
.LBB0_27:
	s_wait_alu 0xfffe
	s_or_b32 exec_lo, exec_lo, s1
	global_wb scope:SCOPE_SE
	s_wait_dscnt 0x0
	s_barrier_signal -1
	s_barrier_wait -1
	global_inv scope:SCOPE_SE
	s_and_saveexec_b32 s0, vcc_lo
	s_cbranch_execz .LBB0_30
; %bb.28:
	ds_load_b128 v[6:9], v244
	ds_load_b128 v[10:13], v244 offset:2912
	ds_load_b128 v[14:17], v244 offset:5824
	;; [unrolled: 1-line block ×8, first 2 shown]
	scratch_load_b64 v[0:1], off, off th:TH_LOAD_LU ; 8-byte Folded Reload
	s_wait_loadcnt 0x0
	v_add_co_u32 v0, vcc_lo, s8, v0
	s_wait_alu 0xfffd
	v_add_co_ci_u32_e32 v1, vcc_lo, s9, v1, vcc_lo
	s_delay_alu instid0(VALU_DEP_2) | instskip(SKIP_1) | instid1(VALU_DEP_2)
	v_add_co_u32 v2, vcc_lo, v0, v4
	s_wait_alu 0xfffd
	v_add_co_ci_u32_e32 v3, vcc_lo, v1, v5, vcc_lo
	v_cmp_eq_u32_e32 vcc_lo, 0xb5, v72
	s_wait_dscnt 0x8
	global_store_b128 v[2:3], v[6:9], off
	s_wait_dscnt 0x7
	global_store_b128 v[2:3], v[10:13], off offset:2912
	s_wait_dscnt 0x6
	global_store_b128 v[2:3], v[14:17], off offset:5824
	;; [unrolled: 2-line block ×8, first 2 shown]
	s_and_b32 exec_lo, exec_lo, vcc_lo
	s_cbranch_execz .LBB0_30
; %bb.29:
	v_mov_b32_e32 v2, 0
	ds_load_b128 v[2:5], v2 offset:26208
	s_wait_dscnt 0x0
	global_store_b128 v[0:1], v[2:5], off offset:26208
.LBB0_30:
	s_nop 0
	s_sendmsg sendmsg(MSG_DEALLOC_VGPRS)
	s_endpgm
	.section	.rodata,"a",@progbits
	.p2align	6, 0x0
	.amdhsa_kernel fft_rtc_fwd_len1638_factors_13_2_3_7_3_wgs_182_tpt_182_halfLds_dp_ip_CI_unitstride_sbrr_R2C_dirReg
		.amdhsa_group_segment_fixed_size 0
		.amdhsa_private_segment_fixed_size 28
		.amdhsa_kernarg_size 88
		.amdhsa_user_sgpr_count 2
		.amdhsa_user_sgpr_dispatch_ptr 0
		.amdhsa_user_sgpr_queue_ptr 0
		.amdhsa_user_sgpr_kernarg_segment_ptr 1
		.amdhsa_user_sgpr_dispatch_id 0
		.amdhsa_user_sgpr_private_segment_size 0
		.amdhsa_wavefront_size32 1
		.amdhsa_uses_dynamic_stack 0
		.amdhsa_enable_private_segment 1
		.amdhsa_system_sgpr_workgroup_id_x 1
		.amdhsa_system_sgpr_workgroup_id_y 0
		.amdhsa_system_sgpr_workgroup_id_z 0
		.amdhsa_system_sgpr_workgroup_info 0
		.amdhsa_system_vgpr_workitem_id 0
		.amdhsa_next_free_vgpr 255
		.amdhsa_next_free_sgpr 44
		.amdhsa_reserve_vcc 1
		.amdhsa_float_round_mode_32 0
		.amdhsa_float_round_mode_16_64 0
		.amdhsa_float_denorm_mode_32 3
		.amdhsa_float_denorm_mode_16_64 3
		.amdhsa_fp16_overflow 0
		.amdhsa_workgroup_processor_mode 1
		.amdhsa_memory_ordered 1
		.amdhsa_forward_progress 0
		.amdhsa_round_robin_scheduling 0
		.amdhsa_exception_fp_ieee_invalid_op 0
		.amdhsa_exception_fp_denorm_src 0
		.amdhsa_exception_fp_ieee_div_zero 0
		.amdhsa_exception_fp_ieee_overflow 0
		.amdhsa_exception_fp_ieee_underflow 0
		.amdhsa_exception_fp_ieee_inexact 0
		.amdhsa_exception_int_div_zero 0
	.end_amdhsa_kernel
	.text
.Lfunc_end0:
	.size	fft_rtc_fwd_len1638_factors_13_2_3_7_3_wgs_182_tpt_182_halfLds_dp_ip_CI_unitstride_sbrr_R2C_dirReg, .Lfunc_end0-fft_rtc_fwd_len1638_factors_13_2_3_7_3_wgs_182_tpt_182_halfLds_dp_ip_CI_unitstride_sbrr_R2C_dirReg
                                        ; -- End function
	.section	.AMDGPU.csdata,"",@progbits
; Kernel info:
; codeLenInByte = 11232
; NumSgprs: 46
; NumVgprs: 255
; ScratchSize: 28
; MemoryBound: 0
; FloatMode: 240
; IeeeMode: 1
; LDSByteSize: 0 bytes/workgroup (compile time only)
; SGPRBlocks: 5
; VGPRBlocks: 31
; NumSGPRsForWavesPerEU: 46
; NumVGPRsForWavesPerEU: 255
; Occupancy: 5
; WaveLimiterHint : 1
; COMPUTE_PGM_RSRC2:SCRATCH_EN: 1
; COMPUTE_PGM_RSRC2:USER_SGPR: 2
; COMPUTE_PGM_RSRC2:TRAP_HANDLER: 0
; COMPUTE_PGM_RSRC2:TGID_X_EN: 1
; COMPUTE_PGM_RSRC2:TGID_Y_EN: 0
; COMPUTE_PGM_RSRC2:TGID_Z_EN: 0
; COMPUTE_PGM_RSRC2:TIDIG_COMP_CNT: 0
	.text
	.p2alignl 7, 3214868480
	.fill 96, 4, 3214868480
	.type	__hip_cuid_1ca543cd61e86d99,@object ; @__hip_cuid_1ca543cd61e86d99
	.section	.bss,"aw",@nobits
	.globl	__hip_cuid_1ca543cd61e86d99
__hip_cuid_1ca543cd61e86d99:
	.byte	0                               ; 0x0
	.size	__hip_cuid_1ca543cd61e86d99, 1

	.ident	"AMD clang version 19.0.0git (https://github.com/RadeonOpenCompute/llvm-project roc-6.4.0 25133 c7fe45cf4b819c5991fe208aaa96edf142730f1d)"
	.section	".note.GNU-stack","",@progbits
	.addrsig
	.addrsig_sym __hip_cuid_1ca543cd61e86d99
	.amdgpu_metadata
---
amdhsa.kernels:
  - .args:
      - .actual_access:  read_only
        .address_space:  global
        .offset:         0
        .size:           8
        .value_kind:     global_buffer
      - .offset:         8
        .size:           8
        .value_kind:     by_value
      - .actual_access:  read_only
        .address_space:  global
        .offset:         16
        .size:           8
        .value_kind:     global_buffer
      - .actual_access:  read_only
        .address_space:  global
        .offset:         24
        .size:           8
        .value_kind:     global_buffer
      - .offset:         32
        .size:           8
        .value_kind:     by_value
      - .actual_access:  read_only
        .address_space:  global
        .offset:         40
        .size:           8
        .value_kind:     global_buffer
      - .actual_access:  read_only
        .address_space:  global
        .offset:         48
        .size:           8
        .value_kind:     global_buffer
      - .offset:         56
        .size:           4
        .value_kind:     by_value
      - .actual_access:  read_only
        .address_space:  global
        .offset:         64
        .size:           8
        .value_kind:     global_buffer
      - .actual_access:  read_only
        .address_space:  global
        .offset:         72
        .size:           8
        .value_kind:     global_buffer
      - .address_space:  global
        .offset:         80
        .size:           8
        .value_kind:     global_buffer
    .group_segment_fixed_size: 0
    .kernarg_segment_align: 8
    .kernarg_segment_size: 88
    .language:       OpenCL C
    .language_version:
      - 2
      - 0
    .max_flat_workgroup_size: 182
    .name:           fft_rtc_fwd_len1638_factors_13_2_3_7_3_wgs_182_tpt_182_halfLds_dp_ip_CI_unitstride_sbrr_R2C_dirReg
    .private_segment_fixed_size: 28
    .sgpr_count:     46
    .sgpr_spill_count: 0
    .symbol:         fft_rtc_fwd_len1638_factors_13_2_3_7_3_wgs_182_tpt_182_halfLds_dp_ip_CI_unitstride_sbrr_R2C_dirReg.kd
    .uniform_work_group_size: 1
    .uses_dynamic_stack: false
    .vgpr_count:     255
    .vgpr_spill_count: 6
    .wavefront_size: 32
    .workgroup_processor_mode: 1
amdhsa.target:   amdgcn-amd-amdhsa--gfx1201
amdhsa.version:
  - 1
  - 2
...

	.end_amdgpu_metadata
